;; amdgpu-corpus repo=ROCm/rocFFT kind=compiled arch=gfx950 opt=O3
	.text
	.amdgcn_target "amdgcn-amd-amdhsa--gfx950"
	.amdhsa_code_object_version 6
	.protected	bluestein_single_back_len2028_dim1_dp_op_CI_CI ; -- Begin function bluestein_single_back_len2028_dim1_dp_op_CI_CI
	.globl	bluestein_single_back_len2028_dim1_dp_op_CI_CI
	.p2align	8
	.type	bluestein_single_back_len2028_dim1_dp_op_CI_CI,@function
bluestein_single_back_len2028_dim1_dp_op_CI_CI: ; @bluestein_single_back_len2028_dim1_dp_op_CI_CI
; %bb.0:
	s_load_dwordx4 s[4:7], s[0:1], 0x28
	v_mul_u32_u24_e32 v1, 0x1a5, v0
	v_mov_b32_e32 v35, 0
	v_add_u32_sdwa v2, s2, v1 dst_sel:DWORD dst_unused:UNUSED_PAD src0_sel:DWORD src1_sel:WORD_1
	v_mov_b32_e32 v3, v35
	s_waitcnt lgkmcnt(0)
	v_cmp_gt_u64_e32 vcc, s[4:5], v[2:3]
	s_and_saveexec_b64 s[2:3], vcc
	s_cbranch_execz .LBB0_18
; %bb.1:
	s_load_dwordx4 s[12:15], s[0:1], 0x18
	s_load_dwordx4 s[8:11], s[0:1], 0x0
	v_mov_b32_e32 v4, s6
	v_mov_b32_e32 v5, s7
	s_movk_i32 s2, 0x9c
	s_waitcnt lgkmcnt(0)
	s_load_dwordx4 s[4:7], s[12:13], 0x0
	v_mul_lo_u16_sdwa v1, v1, s2 dst_sel:DWORD dst_unused:UNUSED_PAD src0_sel:WORD_1 src1_sel:DWORD
	v_sub_u16_e32 v34, v0, v1
	v_accvgpr_write_b32 a2, v2
	v_lshlrev_b32_e32 v252, 4, v34
	s_waitcnt lgkmcnt(0)
	v_mad_u64_u32 v[0:1], s[2:3], s6, v2, 0
	v_mov_b32_e32 v6, v1
	v_mad_u64_u32 v[6:7], s[2:3], s7, v2, v[6:7]
	v_mov_b32_e32 v1, v6
	v_mad_u64_u32 v[6:7], s[2:3], s4, v34, 0
	v_mov_b32_e32 v8, v7
	v_mad_u64_u32 v[8:9], s[2:3], s5, v34, v[8:9]
	v_mov_b32_e32 v7, v8
	v_lshl_add_u64 v[0:1], v[0:1], 4, v[4:5]
	v_lshl_add_u64 v[4:5], v[6:7], 4, v[0:1]
	v_mov_b32_e32 v2, 0x9c0
	global_load_dwordx4 v[52:55], v[4:5], off
	v_mad_u64_u32 v[4:5], s[2:3], s4, v2, v[4:5]
	s_mul_i32 s2, s5, 0x9c0
	s_nop 0
	v_add_u32_e32 v5, s2, v5
	v_mov_b32_e32 v253, v35
	v_mad_u64_u32 v[6:7], s[6:7], s4, v2, v[4:5]
	v_lshl_add_u64 v[0:1], s[8:9], 0, v[252:253]
	v_add_u32_e32 v7, s2, v7
	s_movk_i32 s3, 0x1000
	global_load_dwordx4 v[18:21], v252, s[8:9]
	global_load_dwordx4 v[14:17], v252, s[8:9] offset:2496
	global_load_dwordx4 v[60:63], v[4:5], off
	global_load_dwordx4 v[56:59], v[6:7], off
	v_add_co_u32_e32 v4, vcc, s3, v0
	v_mad_u64_u32 v[6:7], s[6:7], s4, v2, v[6:7]
	s_nop 0
	v_addc_co_u32_e32 v5, vcc, 0, v1, vcc
	v_add_u32_e32 v7, s2, v7
	global_load_dwordx4 v[26:29], v[4:5], off offset:896
	global_load_dwordx4 v[22:25], v[4:5], off offset:3392
	v_mad_u64_u32 v[4:5], s[6:7], s4, v2, v[6:7]
	v_add_u32_e32 v5, s2, v5
	global_load_dwordx4 v[68:71], v[6:7], off
	global_load_dwordx4 v[64:67], v[4:5], off
	s_movk_i32 s3, 0x2000
	v_mad_u64_u32 v[4:5], s[6:7], s4, v2, v[4:5]
	v_add_co_u32_e32 v6, vcc, s3, v0
	v_add_u32_e32 v5, s2, v5
	s_nop 0
	v_addc_co_u32_e32 v7, vcc, 0, v1, vcc
	global_load_dwordx4 v[72:75], v[4:5], off
	s_movk_i32 s3, 0x3000
	v_mad_u64_u32 v[4:5], s[6:7], s4, v2, v[4:5]
	v_add_co_u32_e32 v8, vcc, s3, v0
	v_add_u32_e32 v5, s2, v5
	s_nop 0
	v_addc_co_u32_e32 v9, vcc, 0, v1, vcc
	global_load_dwordx4 v[36:39], v[6:7], off offset:1792
	global_load_dwordx4 v[30:33], v[8:9], off offset:192
	v_mad_u64_u32 v[10:11], s[6:7], s4, v2, v[4:5]
	s_movk_i32 s3, 0x4000
	v_add_u32_e32 v11, s2, v11
	v_add_co_u32_e32 v12, vcc, s3, v0
	global_load_dwordx4 v[76:79], v[4:5], off
	s_nop 0
	v_addc_co_u32_e32 v13, vcc, 0, v1, vcc
	global_load_dwordx4 v[4:7], v[10:11], off
	global_load_dwordx4 v[44:47], v[8:9], off offset:2688
	global_load_dwordx4 v[40:43], v[12:13], off offset:1088
	v_mad_u64_u32 v[8:9], s[6:7], s4, v2, v[10:11]
	v_add_u32_e32 v9, s2, v9
	global_load_dwordx4 v[80:83], v[8:9], off
	v_mad_u64_u32 v[8:9], s[6:7], s4, v2, v[8:9]
	v_add_u32_e32 v9, s2, v9
	s_movk_i32 s3, 0x5000
	global_load_dwordx4 v[84:87], v[8:9], off
	v_add_co_u32_e32 v10, vcc, s3, v0
	v_mad_u64_u32 v[8:9], s[6:7], s4, v2, v[8:9]
	s_nop 0
	v_addc_co_u32_e32 v11, vcc, 0, v1, vcc
	global_load_dwordx4 v[104:107], v[12:13], off offset:3584
	global_load_dwordx4 v[48:51], v[10:11], off offset:1984
	v_add_u32_e32 v9, s2, v9
	global_load_dwordx4 v[88:91], v[8:9], off
	s_movk_i32 s3, 0x6000
	v_mad_u64_u32 v[8:9], s[6:7], s4, v2, v[8:9]
	v_add_co_u32_e32 v10, vcc, s3, v0
	v_add_u32_e32 v9, s2, v9
	s_nop 0
	v_addc_co_u32_e32 v11, vcc, 0, v1, vcc
	global_load_dwordx4 v[92:95], v[8:9], off
	global_load_dwordx4 v[112:115], v[10:11], off offset:384
	global_load_dwordx4 v[108:111], v[10:11], off offset:2880
	v_mad_u64_u32 v[8:9], s[4:5], s4, v2, v[8:9]
	v_add_u32_e32 v9, s2, v9
	s_movk_i32 s2, 0x7000
	v_add_co_u32_e32 v0, vcc, s2, v0
	global_load_dwordx4 v[96:99], v[8:9], off
	s_nop 0
	v_addc_co_u32_e32 v1, vcc, 0, v1, vcc
	global_load_dwordx4 v[8:11], v[0:1], off offset:1280
	s_waitcnt vmcnt(24)
	v_mul_f64 v[100:101], v[54:55], v[20:21]
	v_mul_f64 v[0:1], v[52:53], v[20:21]
	v_fmac_f64_e32 v[100:101], v[52:53], v[18:19]
	v_fma_f64 v[102:103], v[54:55], v[18:19], -v[0:1]
	s_waitcnt vmcnt(22)
	v_mul_f64 v[52:53], v[62:63], v[16:17]
	v_mul_f64 v[0:1], v[60:61], v[16:17]
	v_fmac_f64_e32 v[52:53], v[60:61], v[14:15]
	v_fma_f64 v[54:55], v[62:63], v[14:15], -v[0:1]
	s_load_dwordx2 s[12:13], s[0:1], 0x38
	s_load_dwordx4 s[4:7], s[14:15], 0x0
	ds_write_b128 v252, v[52:55] offset:2496
	s_waitcnt vmcnt(20)
	v_mul_f64 v[52:53], v[58:59], v[28:29]
	v_mul_f64 v[0:1], v[56:57], v[28:29]
	v_fmac_f64_e32 v[52:53], v[56:57], v[26:27]
	v_fma_f64 v[54:55], v[58:59], v[26:27], -v[0:1]
	ds_write_b128 v252, v[52:55] offset:4992
	s_waitcnt vmcnt(18)
	v_mul_f64 v[52:53], v[70:71], v[24:25]
	v_mul_f64 v[0:1], v[68:69], v[24:25]
	v_fmac_f64_e32 v[52:53], v[68:69], v[22:23]
	v_fma_f64 v[54:55], v[70:71], v[22:23], -v[0:1]
	ds_write_b128 v252, v[52:55] offset:7488
	ds_write_b128 v252, v[100:103]
	s_mov_b32 s34, 0x42a4c3d2
	s_mov_b32 s36, 0x66966769
	;; [unrolled: 1-line block ×5, first 2 shown]
	v_accvgpr_write_b32 a4, v14
	v_accvgpr_write_b32 a12, v22
	s_mov_b32 s25, 0xbfddbe06
	s_mov_b32 s24, 0x4267c47c
	s_waitcnt vmcnt(15)
	v_mul_f64 v[52:53], v[66:67], v[38:39]
	v_mul_f64 v[0:1], v[64:65], v[38:39]
	v_fmac_f64_e32 v[52:53], v[64:65], v[36:37]
	v_fma_f64 v[54:55], v[66:67], v[36:37], -v[0:1]
	ds_write_b128 v252, v[52:55] offset:9984
	s_waitcnt vmcnt(14)
	v_mul_f64 v[52:53], v[74:75], v[32:33]
	v_mul_f64 v[0:1], v[72:73], v[32:33]
	v_fmac_f64_e32 v[52:53], v[72:73], v[30:31]
	v_fma_f64 v[54:55], v[74:75], v[30:31], -v[0:1]
	ds_write_b128 v252, v[52:55] offset:12480
	s_mov_b32 s22, 0xe00740e9
	s_waitcnt vmcnt(11)
	v_mul_f64 v[52:53], v[78:79], v[46:47]
	v_mul_f64 v[0:1], v[76:77], v[46:47]
	v_fmac_f64_e32 v[52:53], v[76:77], v[44:45]
	v_fma_f64 v[54:55], v[78:79], v[44:45], -v[0:1]
	ds_write_b128 v252, v[52:55] offset:14976
	s_waitcnt vmcnt(10)
	v_mul_f64 v[52:53], v[6:7], v[42:43]
	v_mul_f64 v[0:1], v[4:5], v[42:43]
	v_fmac_f64_e32 v[52:53], v[4:5], v[40:41]
	v_fma_f64 v[54:55], v[6:7], v[40:41], -v[0:1]
	ds_write_b128 v252, v[52:55] offset:17472
	s_mov_b32 s35, 0xbfea55e2
	s_mov_b32 s16, 0x1ea71119
	;; [unrolled: 1-line block ×6, first 2 shown]
	s_waitcnt vmcnt(7)
	v_mul_f64 v[4:5], v[82:83], v[106:107]
	v_mul_f64 v[0:1], v[80:81], v[106:107]
	v_fmac_f64_e32 v[4:5], v[80:81], v[104:105]
	v_fma_f64 v[6:7], v[82:83], v[104:105], -v[0:1]
	ds_write_b128 v252, v[4:7] offset:19968
	s_waitcnt vmcnt(6)
	v_mul_f64 v[4:5], v[86:87], v[50:51]
	v_mul_f64 v[0:1], v[84:85], v[50:51]
	v_fmac_f64_e32 v[4:5], v[84:85], v[48:49]
	v_fma_f64 v[6:7], v[86:87], v[48:49], -v[0:1]
	ds_write_b128 v252, v[4:7] offset:22464
	v_accvgpr_write_b32 a40, v104
	s_waitcnt vmcnt(3)
	v_mul_f64 v[4:5], v[90:91], v[114:115]
	v_mul_f64 v[0:1], v[88:89], v[114:115]
	v_fmac_f64_e32 v[4:5], v[88:89], v[112:113]
	v_fma_f64 v[6:7], v[90:91], v[112:113], -v[0:1]
	ds_write_b128 v252, v[4:7] offset:24960
	s_waitcnt vmcnt(2)
	v_mul_f64 v[4:5], v[94:95], v[110:111]
	v_mul_f64 v[0:1], v[92:93], v[110:111]
	v_fmac_f64_e32 v[4:5], v[92:93], v[108:109]
	v_fma_f64 v[6:7], v[94:95], v[108:109], -v[0:1]
	ds_write_b128 v252, v[4:7] offset:27456
	v_accvgpr_write_b32 a52, v112
	s_waitcnt vmcnt(0)
	v_mul_f64 v[4:5], v[98:99], v[10:11]
	v_mul_f64 v[0:1], v[96:97], v[10:11]
	v_fmac_f64_e32 v[4:5], v[96:97], v[8:9]
	v_accvgpr_write_b32 a51, v11
	v_fma_f64 v[6:7], v[98:99], v[8:9], -v[0:1]
	v_accvgpr_write_b32 a50, v10
	v_accvgpr_write_b32 a49, v9
	;; [unrolled: 1-line block ×3, first 2 shown]
	ds_write_b128 v252, v[4:7] offset:29952
	s_waitcnt lgkmcnt(0)
	s_barrier
	ds_read_b128 v[4:7], v252
	ds_read_b128 v[92:95], v252 offset:2496
	ds_read_b128 v[88:91], v252 offset:4992
	;; [unrolled: 1-line block ×12, first 2 shown]
	s_waitcnt lgkmcnt(11)
	v_add_f64 v[0:1], v[4:5], v[92:93]
	v_add_f64 v[8:9], v[6:7], v[94:95]
	s_waitcnt lgkmcnt(10)
	v_add_f64 v[0:1], v[0:1], v[88:89]
	v_add_f64 v[8:9], v[8:9], v[90:91]
	;; [unrolled: 3-line block ×11, first 2 shown]
	s_waitcnt lgkmcnt(0)
	v_add_f64 v[12:13], v[94:95], -v[102:103]
	s_mov_b32 s27, 0xbfe5384d
	s_mov_b32 s18, 0xd0032e0c
	;; [unrolled: 1-line block ×4, first 2 shown]
	v_accvgpr_write_b32 a8, v18
	v_accvgpr_write_b32 a5, v15
	v_accvgpr_write_b32 a6, v16
	v_accvgpr_write_b32 a7, v17
	v_accvgpr_write_b32 a16, v26
	v_accvgpr_write_b32 a13, v23
	v_accvgpr_write_b32 a14, v24
	v_accvgpr_write_b32 a15, v25
	v_accvgpr_write_b32 a41, v105
	v_accvgpr_write_b32 a42, v106
	v_accvgpr_write_b32 a43, v107
	v_accvgpr_write_b32 a53, v113
	v_accvgpr_write_b32 a54, v114
	v_accvgpr_write_b32 a55, v115
	v_accvgpr_write_b32 a44, v108
	v_add_f64 v[52:53], v[0:1], v[100:101]
	v_add_f64 v[54:55], v[8:9], v[102:103]
	;; [unrolled: 1-line block ×4, first 2 shown]
	v_add_f64 v[10:11], v[92:93], -v[100:101]
	v_mul_f64 v[14:15], v[12:13], s[24:25]
	s_mov_b32 s23, 0x3fec55a7
	v_mul_f64 v[22:23], v[12:13], s[34:35]
	s_mov_b32 s17, 0x3fe22d96
	;; [unrolled: 2-line block ×6, first 2 shown]
	v_accvgpr_write_b32 a9, v19
	v_accvgpr_write_b32 a10, v20
	;; [unrolled: 1-line block ×9, first 2 shown]
	v_fma_f64 v[16:17], v[0:1], s[22:23], -v[14:15]
	v_mul_f64 v[18:19], v[10:11], s[24:25]
	v_fmac_f64_e32 v[14:15], s[22:23], v[0:1]
	v_fma_f64 v[24:25], v[0:1], s[16:17], -v[22:23]
	v_mul_f64 v[26:27], v[10:11], s[34:35]
	v_fmac_f64_e32 v[22:23], s[16:17], v[0:1]
	;; [unrolled: 3-line block ×6, first 2 shown]
	v_add_f64 v[16:17], v[4:5], v[16:17]
	v_fma_f64 v[20:21], s[22:23], v[8:9], v[18:19]
	v_add_f64 v[14:15], v[4:5], v[14:15]
	v_fma_f64 v[18:19], v[8:9], s[22:23], -v[18:19]
	v_add_f64 v[24:25], v[4:5], v[24:25]
	v_fma_f64 v[92:93], s[16:17], v[8:9], v[26:27]
	v_add_f64 v[22:23], v[4:5], v[22:23]
	v_fma_f64 v[26:27], v[8:9], s[16:17], -v[26:27]
	;; [unrolled: 4-line block ×6, first 2 shown]
	v_add_f64 v[12:13], v[90:91], -v[98:99]
	v_add_f64 v[20:21], v[6:7], v[20:21]
	v_add_f64 v[18:19], v[6:7], v[18:19]
	;; [unrolled: 1-line block ×13, first 2 shown]
	v_add_f64 v[10:11], v[88:89], -v[96:97]
	v_mul_f64 v[88:89], v[12:13], s[34:35]
	v_add_f64 v[8:9], v[90:91], v[98:99]
	v_fma_f64 v[90:91], v[6:7], s[16:17], -v[88:89]
	v_add_f64 v[16:17], v[90:91], v[16:17]
	v_mul_f64 v[90:91], v[10:11], s[34:35]
	v_fmac_f64_e32 v[88:89], s[16:17], v[6:7]
	v_add_f64 v[14:15], v[88:89], v[14:15]
	v_fma_f64 v[88:89], v[8:9], s[16:17], -v[90:91]
	v_add_f64 v[18:19], v[88:89], v[18:19]
	v_mul_f64 v[88:89], v[12:13], s[14:15]
	v_fma_f64 v[96:97], s[16:17], v[8:9], v[90:91]
	v_fma_f64 v[90:91], v[6:7], s[2:3], -v[88:89]
	v_add_f64 v[24:25], v[90:91], v[24:25]
	v_mul_f64 v[90:91], v[10:11], s[14:15]
	v_fmac_f64_e32 v[88:89], s[2:3], v[6:7]
	v_add_f64 v[22:23], v[88:89], v[22:23]
	v_fma_f64 v[88:89], v[8:9], s[2:3], -v[90:91]
	v_add_f64 v[20:21], v[96:97], v[20:21]
	v_fma_f64 v[96:97], s[2:3], v[8:9], v[90:91]
	v_add_f64 v[26:27], v[88:89], v[26:27]
	v_mul_f64 v[88:89], v[12:13], s[30:31]
	v_add_f64 v[92:93], v[96:97], v[92:93]
	v_fma_f64 v[90:91], v[6:7], s[28:29], -v[88:89]
	v_mul_f64 v[96:97], v[10:11], s[30:31]
	v_fmac_f64_e32 v[88:89], s[28:29], v[6:7]
	s_mov_b32 s39, 0x3fe5384d
	s_mov_b32 s38, s26
	v_fma_f64 v[98:99], s[28:29], v[8:9], v[96:97]
	v_add_f64 v[88:89], v[88:89], v[94:95]
	v_fma_f64 v[94:95], v[8:9], s[28:29], -v[96:97]
	v_mul_f64 v[96:97], v[12:13], s[38:39]
	v_add_f64 v[90:91], v[90:91], v[100:101]
	v_fma_f64 v[100:101], v[6:7], s[18:19], -v[96:97]
	v_fmac_f64_e32 v[96:97], s[18:19], v[6:7]
	s_mov_b32 s21, 0x3fefc445
	s_mov_b32 s20, s36
	v_add_f64 v[94:95], v[94:95], v[102:103]
	v_mul_f64 v[102:103], v[10:11], s[38:39]
	v_add_f64 v[96:97], v[96:97], v[106:107]
	v_mul_f64 v[106:107], v[12:13], s[20:21]
	s_mov_b32 s25, 0x3fddbe06
	v_add_f64 v[98:99], v[98:99], v[104:105]
	v_add_f64 v[100:101], v[100:101], v[108:109]
	v_fma_f64 v[104:105], s[18:19], v[8:9], v[102:103]
	v_fma_f64 v[102:103], v[8:9], s[18:19], -v[102:103]
	v_fma_f64 v[108:109], v[6:7], s[0:1], -v[106:107]
	v_fmac_f64_e32 v[106:107], s[0:1], v[6:7]
	v_mul_f64 v[12:13], v[12:13], s[24:25]
	v_add_f64 v[102:103], v[102:103], v[110:111]
	v_mul_f64 v[110:111], v[10:11], s[20:21]
	v_add_f64 v[106:107], v[106:107], v[114:115]
	v_fma_f64 v[114:115], v[6:7], s[22:23], -v[12:13]
	v_mul_f64 v[10:11], v[10:11], s[24:25]
	v_fmac_f64_e32 v[12:13], s[22:23], v[6:7]
	v_add_f64 v[0:1], v[12:13], v[0:1]
	v_fma_f64 v[6:7], v[8:9], s[22:23], -v[10:11]
	v_add_f64 v[12:13], v[82:83], -v[86:87]
	v_add_f64 v[108:109], v[108:109], v[116:117]
	v_fma_f64 v[116:117], s[22:23], v[8:9], v[10:11]
	v_add_f64 v[4:5], v[6:7], v[4:5]
	v_add_f64 v[6:7], v[80:81], v[84:85]
	v_add_f64 v[10:11], v[80:81], -v[84:85]
	v_mul_f64 v[80:81], v[12:13], s[36:37]
	v_add_f64 v[104:105], v[104:105], v[112:113]
	v_fma_f64 v[112:113], s[0:1], v[8:9], v[110:111]
	v_fma_f64 v[110:111], v[8:9], s[0:1], -v[110:111]
	v_add_f64 v[8:9], v[82:83], v[86:87]
	v_fma_f64 v[82:83], v[6:7], s[0:1], -v[80:81]
	v_add_f64 v[16:17], v[82:83], v[16:17]
	v_mul_f64 v[82:83], v[10:11], s[36:37]
	v_fmac_f64_e32 v[80:81], s[0:1], v[6:7]
	v_add_f64 v[14:15], v[80:81], v[14:15]
	v_fma_f64 v[80:81], v[8:9], s[0:1], -v[82:83]
	v_add_f64 v[18:19], v[80:81], v[18:19]
	v_mul_f64 v[80:81], v[12:13], s[30:31]
	v_fma_f64 v[84:85], s[0:1], v[8:9], v[82:83]
	v_fma_f64 v[82:83], v[6:7], s[28:29], -v[80:81]
	v_add_f64 v[24:25], v[82:83], v[24:25]
	v_mul_f64 v[82:83], v[10:11], s[30:31]
	v_fmac_f64_e32 v[80:81], s[28:29], v[6:7]
	v_add_f64 v[22:23], v[80:81], v[22:23]
	v_fma_f64 v[80:81], v[8:9], s[28:29], -v[82:83]
	s_mov_b32 s41, 0x3fedeba7
	s_mov_b32 s40, s14
	v_add_f64 v[26:27], v[80:81], v[26:27]
	v_mul_f64 v[80:81], v[12:13], s[40:41]
	v_add_f64 v[20:21], v[84:85], v[20:21]
	v_fma_f64 v[84:85], s[28:29], v[8:9], v[82:83]
	v_fma_f64 v[82:83], v[6:7], s[2:3], -v[80:81]
	v_fmac_f64_e32 v[80:81], s[2:3], v[6:7]
	v_mul_f64 v[86:87], v[10:11], s[40:41]
	v_add_f64 v[80:81], v[80:81], v[88:89]
	v_mul_f64 v[88:89], v[12:13], s[24:25]
	v_add_f64 v[84:85], v[84:85], v[92:93]
	v_add_f64 v[82:83], v[82:83], v[90:91]
	v_fma_f64 v[90:91], s[2:3], v[8:9], v[86:87]
	v_fma_f64 v[86:87], v[8:9], s[2:3], -v[86:87]
	v_fma_f64 v[92:93], v[6:7], s[22:23], -v[88:89]
	v_fmac_f64_e32 v[88:89], s[22:23], v[6:7]
	v_add_f64 v[86:87], v[86:87], v[94:95]
	v_mul_f64 v[94:95], v[10:11], s[24:25]
	v_add_f64 v[88:89], v[88:89], v[96:97]
	v_mul_f64 v[96:97], v[12:13], s[34:35]
	v_add_f64 v[90:91], v[90:91], v[98:99]
	v_add_f64 v[92:93], v[92:93], v[100:101]
	v_fma_f64 v[98:99], s[22:23], v[8:9], v[94:95]
	v_fma_f64 v[94:95], v[8:9], s[22:23], -v[94:95]
	v_fma_f64 v[100:101], v[6:7], s[16:17], -v[96:97]
	v_fmac_f64_e32 v[96:97], s[16:17], v[6:7]
	v_mul_f64 v[12:13], v[12:13], s[26:27]
	v_add_f64 v[94:95], v[94:95], v[102:103]
	v_mul_f64 v[102:103], v[10:11], s[34:35]
	v_add_f64 v[96:97], v[96:97], v[106:107]
	v_fma_f64 v[106:107], v[6:7], s[18:19], -v[12:13]
	v_mul_f64 v[10:11], v[10:11], s[26:27]
	v_fmac_f64_e32 v[12:13], s[18:19], v[6:7]
	v_add_f64 v[0:1], v[12:13], v[0:1]
	v_fma_f64 v[6:7], v[8:9], s[18:19], -v[10:11]
	v_add_f64 v[12:13], v[74:75], -v[78:79]
	v_add_f64 v[100:101], v[100:101], v[108:109]
	v_fma_f64 v[108:109], s[18:19], v[8:9], v[10:11]
	v_add_f64 v[4:5], v[6:7], v[4:5]
	v_add_f64 v[6:7], v[72:73], v[76:77]
	v_add_f64 v[10:11], v[72:73], -v[76:77]
	v_mul_f64 v[72:73], v[12:13], s[14:15]
	v_add_f64 v[98:99], v[98:99], v[104:105]
	v_fma_f64 v[104:105], s[16:17], v[8:9], v[102:103]
	v_fma_f64 v[102:103], v[8:9], s[16:17], -v[102:103]
	v_add_f64 v[8:9], v[74:75], v[78:79]
	v_fma_f64 v[74:75], v[6:7], s[2:3], -v[72:73]
	v_add_f64 v[16:17], v[74:75], v[16:17]
	v_mul_f64 v[74:75], v[10:11], s[14:15]
	v_fmac_f64_e32 v[72:73], s[2:3], v[6:7]
	v_add_f64 v[14:15], v[72:73], v[14:15]
	v_fma_f64 v[72:73], v[8:9], s[2:3], -v[74:75]
	v_add_f64 v[18:19], v[72:73], v[18:19]
	v_mul_f64 v[72:73], v[12:13], s[38:39]
	v_fma_f64 v[76:77], s[2:3], v[8:9], v[74:75]
	v_fma_f64 v[74:75], v[6:7], s[18:19], -v[72:73]
	v_add_f64 v[24:25], v[74:75], v[24:25]
	v_mul_f64 v[74:75], v[10:11], s[38:39]
	v_fmac_f64_e32 v[72:73], s[18:19], v[6:7]
	v_add_f64 v[22:23], v[72:73], v[22:23]
	v_fma_f64 v[72:73], v[8:9], s[18:19], -v[74:75]
	v_add_f64 v[26:27], v[72:73], v[26:27]
	v_mul_f64 v[72:73], v[12:13], s[24:25]
	v_add_f64 v[20:21], v[76:77], v[20:21]
	v_fma_f64 v[76:77], s[18:19], v[8:9], v[74:75]
	v_fma_f64 v[74:75], v[6:7], s[22:23], -v[72:73]
	v_mul_f64 v[78:79], v[10:11], s[24:25]
	v_add_f64 v[74:75], v[74:75], v[82:83]
	v_fma_f64 v[82:83], s[22:23], v[8:9], v[78:79]
	v_fma_f64 v[78:79], v[8:9], s[22:23], -v[78:79]
	v_fmac_f64_e32 v[72:73], s[22:23], v[6:7]
	v_add_f64 v[78:79], v[78:79], v[86:87]
	v_mul_f64 v[86:87], v[10:11], s[36:37]
	v_add_f64 v[82:83], v[82:83], v[90:91]
	v_add_f64 v[72:73], v[72:73], v[80:81]
	v_mul_f64 v[80:81], v[12:13], s[36:37]
	v_fma_f64 v[90:91], s[0:1], v[8:9], v[86:87]
	v_fma_f64 v[86:87], v[8:9], s[0:1], -v[86:87]
	s_mov_b32 s39, 0x3fcea1e5
	s_mov_b32 s38, s30
	v_add_f64 v[110:111], v[110:111], v[118:119]
	v_add_f64 v[76:77], v[76:77], v[84:85]
	v_fma_f64 v[84:85], v[6:7], s[0:1], -v[80:81]
	v_fmac_f64_e32 v[80:81], s[0:1], v[6:7]
	v_add_f64 v[86:87], v[86:87], v[94:95]
	v_mul_f64 v[94:95], v[10:11], s[38:39]
	s_mov_b32 s37, 0x3fea55e2
	s_mov_b32 s36, s34
	v_add_f64 v[116:117], v[116:117], v[124:125]
	v_add_f64 v[102:103], v[102:103], v[110:111]
	;; [unrolled: 1-line block ×4, first 2 shown]
	v_mul_f64 v[88:89], v[12:13], s[38:39]
	v_fma_f64 v[98:99], s[28:29], v[8:9], v[94:95]
	v_fma_f64 v[94:95], v[8:9], s[28:29], -v[94:95]
	v_mul_f64 v[12:13], v[12:13], s[36:37]
	v_add_f64 v[114:115], v[114:115], v[122:123]
	v_add_f64 v[108:109], v[108:109], v[116:117]
	;; [unrolled: 1-line block ×3, first 2 shown]
	v_fma_f64 v[94:95], v[6:7], s[16:17], -v[12:13]
	v_mul_f64 v[10:11], v[10:11], s[36:37]
	v_fmac_f64_e32 v[12:13], s[16:17], v[6:7]
	v_add_f64 v[106:107], v[106:107], v[114:115]
	v_add_f64 v[84:85], v[84:85], v[92:93]
	v_fma_f64 v[92:93], v[6:7], s[28:29], -v[88:89]
	v_fmac_f64_e32 v[88:89], s[28:29], v[6:7]
	v_add_f64 v[0:1], v[12:13], v[0:1]
	v_fma_f64 v[6:7], v[8:9], s[16:17], -v[10:11]
	v_add_f64 v[12:13], v[66:67], -v[70:71]
	v_add_f64 v[118:119], v[94:95], v[106:107]
	v_fma_f64 v[94:95], s[16:17], v[8:9], v[10:11]
	v_add_f64 v[4:5], v[6:7], v[4:5]
	v_add_f64 v[6:7], v[64:65], v[68:69]
	v_add_f64 v[10:11], v[64:65], -v[68:69]
	v_mul_f64 v[64:65], v[12:13], s[26:27]
	v_add_f64 v[8:9], v[66:67], v[70:71]
	v_fma_f64 v[66:67], v[6:7], s[18:19], -v[64:65]
	v_add_f64 v[16:17], v[66:67], v[16:17]
	v_mul_f64 v[66:67], v[10:11], s[26:27]
	v_fma_f64 v[68:69], s[18:19], v[8:9], v[66:67]
	v_fmac_f64_e32 v[64:65], s[18:19], v[6:7]
	v_add_f64 v[20:21], v[68:69], v[20:21]
	v_add_f64 v[14:15], v[64:65], v[14:15]
	v_fma_f64 v[64:65], v[8:9], s[18:19], -v[66:67]
	v_mul_f64 v[68:69], v[12:13], s[20:21]
	v_add_f64 v[18:19], v[64:65], v[18:19]
	v_fma_f64 v[64:65], v[6:7], s[0:1], -v[68:69]
	v_add_f64 v[112:113], v[112:113], v[120:121]
	v_add_f64 v[64:65], v[64:65], v[24:25]
	v_mul_f64 v[24:25], v[10:11], s[20:21]
	v_fmac_f64_e32 v[68:69], s[0:1], v[6:7]
	v_add_f64 v[104:105], v[104:105], v[112:113]
	v_add_f64 v[112:113], v[68:69], v[22:23]
	v_fma_f64 v[22:23], v[8:9], s[0:1], -v[24:25]
	v_add_f64 v[110:111], v[22:23], v[26:27]
	v_mul_f64 v[22:23], v[12:13], s[34:35]
	v_fma_f64 v[66:67], s[0:1], v[8:9], v[24:25]
	v_fma_f64 v[24:25], v[6:7], s[16:17], -v[22:23]
	v_add_f64 v[120:121], v[94:95], v[108:109]
	v_add_f64 v[108:109], v[24:25], v[74:75]
	v_mul_f64 v[24:25], v[10:11], s[34:35]
	v_fmac_f64_e32 v[22:23], s[16:17], v[6:7]
	v_add_f64 v[114:115], v[98:99], v[104:105]
	v_add_f64 v[104:105], v[22:23], v[72:73]
	v_fma_f64 v[22:23], v[8:9], s[16:17], -v[24:25]
	v_add_f64 v[102:103], v[22:23], v[78:79]
	v_mul_f64 v[22:23], v[12:13], s[38:39]
	v_fma_f64 v[26:27], s[16:17], v[8:9], v[24:25]
	v_fma_f64 v[24:25], v[6:7], s[28:29], -v[22:23]
	v_add_f64 v[92:93], v[92:93], v[100:101]
	v_add_f64 v[100:101], v[24:25], v[84:85]
	v_mul_f64 v[24:25], v[10:11], s[38:39]
	v_fmac_f64_e32 v[22:23], s[28:29], v[6:7]
	v_add_f64 v[88:89], v[88:89], v[96:97]
	v_add_f64 v[96:97], v[22:23], v[80:81]
	v_fma_f64 v[22:23], v[8:9], s[28:29], -v[24:25]
	v_add_f64 v[94:95], v[22:23], v[86:87]
	v_mul_f64 v[22:23], v[12:13], s[24:25]
	v_add_f64 v[106:107], v[26:27], v[82:83]
	v_fma_f64 v[26:27], s[28:29], v[8:9], v[24:25]
	v_fma_f64 v[24:25], v[6:7], s[22:23], -v[22:23]
	v_add_f64 v[84:85], v[24:25], v[92:93]
	v_mul_f64 v[24:25], v[10:11], s[24:25]
	v_fmac_f64_e32 v[22:23], s[22:23], v[6:7]
	v_add_f64 v[66:67], v[66:67], v[76:77]
	v_add_f64 v[76:77], v[22:23], v[88:89]
	v_fma_f64 v[22:23], v[8:9], s[22:23], -v[24:25]
	v_mul_f64 v[12:13], v[12:13], s[14:15]
	v_add_f64 v[74:75], v[22:23], v[116:117]
	v_fma_f64 v[22:23], v[6:7], s[2:3], -v[12:13]
	v_mul_f64 v[10:11], v[10:11], s[14:15]
	v_fmac_f64_e32 v[12:13], s[2:3], v[6:7]
	v_add_f64 v[68:69], v[12:13], v[0:1]
	v_fma_f64 v[0:1], v[8:9], s[2:3], -v[10:11]
	v_add_f64 v[92:93], v[58:59], -v[62:63]
	v_add_f64 v[0:1], v[0:1], v[4:5]
	v_add_f64 v[82:83], v[56:57], v[60:61]
	v_mul_f64 v[4:5], v[92:93], s[30:31]
	v_add_f64 v[86:87], v[56:57], -v[60:61]
	v_fma_f64 v[6:7], v[82:83], s[28:29], -v[4:5]
	v_add_f64 v[78:79], v[58:59], v[62:63]
	v_add_f64 v[56:57], v[6:7], v[16:17]
	v_mul_f64 v[6:7], v[86:87], s[30:31]
	v_fmac_f64_e32 v[4:5], s[28:29], v[82:83]
	v_add_f64 v[88:89], v[4:5], v[14:15]
	v_fma_f64 v[4:5], v[78:79], s[28:29], -v[6:7]
	v_add_f64 v[98:99], v[26:27], v[90:91]
	v_add_f64 v[90:91], v[4:5], v[18:19]
	v_mul_f64 v[4:5], v[92:93], s[24:25]
	v_fma_f64 v[26:27], s[22:23], v[8:9], v[24:25]
	v_add_f64 v[72:73], v[22:23], v[118:119]
	v_fma_f64 v[22:23], s[2:3], v[8:9], v[10:11]
	v_fma_f64 v[8:9], s[28:29], v[78:79], v[6:7]
	v_fma_f64 v[6:7], v[82:83], s[22:23], -v[4:5]
	v_add_f64 v[64:65], v[6:7], v[64:65]
	v_mul_f64 v[6:7], v[86:87], s[24:25]
	v_add_f64 v[58:59], v[8:9], v[20:21]
	v_fma_f64 v[8:9], s[22:23], v[78:79], v[6:7]
	v_fmac_f64_e32 v[4:5], s[22:23], v[82:83]
	v_add_f64 v[66:67], v[8:9], v[66:67]
	v_add_f64 v[60:61], v[4:5], v[112:113]
	v_fma_f64 v[4:5], v[78:79], s[22:23], -v[6:7]
	v_mul_f64 v[8:9], v[92:93], s[26:27]
	v_add_f64 v[62:63], v[4:5], v[110:111]
	v_fma_f64 v[4:5], v[82:83], s[18:19], -v[8:9]
	v_mul_f64 v[10:11], v[86:87], s[26:27]
	v_fmac_f64_e32 v[8:9], s[18:19], v[82:83]
	v_fma_f64 v[6:7], s[18:19], v[78:79], v[10:11]
	v_add_f64 v[104:105], v[8:9], v[104:105]
	v_fma_f64 v[8:9], v[78:79], s[18:19], -v[10:11]
	v_add_f64 v[6:7], v[6:7], v[106:107]
	v_add_f64 v[106:107], v[8:9], v[102:103]
	v_mul_f64 v[8:9], v[92:93], s[36:37]
	v_fma_f64 v[10:11], v[82:83], s[16:17], -v[8:9]
	v_add_f64 v[100:101], v[10:11], v[100:101]
	v_mul_f64 v[10:11], v[86:87], s[36:37]
	v_fmac_f64_e32 v[8:9], s[16:17], v[82:83]
	v_fma_f64 v[12:13], s[16:17], v[78:79], v[10:11]
	v_add_f64 v[96:97], v[8:9], v[96:97]
	v_fma_f64 v[8:9], v[78:79], s[16:17], -v[10:11]
	v_add_f64 v[102:103], v[12:13], v[98:99]
	v_add_f64 v[98:99], v[8:9], v[94:95]
	v_mul_f64 v[8:9], v[92:93], s[14:15]
	v_fma_f64 v[10:11], v[82:83], s[2:3], -v[8:9]
	v_add_f64 v[4:5], v[4:5], v[108:109]
	v_add_f64 v[108:109], v[10:11], v[84:85]
	v_mul_f64 v[10:11], v[86:87], s[14:15]
	v_fmac_f64_e32 v[8:9], s[2:3], v[82:83]
	v_add_f64 v[112:113], v[8:9], v[76:77]
	v_fma_f64 v[8:9], v[78:79], s[2:3], -v[10:11]
	v_add_f64 v[80:81], v[26:27], v[114:115]
	v_add_f64 v[114:115], v[8:9], v[74:75]
	v_mul_f64 v[8:9], v[92:93], s[20:21]
	v_fma_f64 v[12:13], s[2:3], v[78:79], v[10:11]
	v_fma_f64 v[10:11], v[82:83], s[0:1], -v[8:9]
	v_add_f64 v[72:73], v[10:11], v[72:73]
	v_mul_f64 v[10:11], v[86:87], s[20:21]
	v_fmac_f64_e32 v[8:9], s[0:1], v[82:83]
	v_add_f64 v[70:71], v[22:23], v[120:121]
	v_add_f64 v[110:111], v[12:13], v[80:81]
	v_fma_f64 v[12:13], s[0:1], v[78:79], v[10:11]
	v_add_f64 v[68:69], v[8:9], v[68:69]
	v_fma_f64 v[8:9], v[78:79], s[0:1], -v[10:11]
	v_add_f64 v[74:75], v[12:13], v[70:71]
	v_add_f64 v[70:71], v[8:9], v[0:1]
	v_mul_lo_u16_e32 v0, 13, v34
	v_lshlrev_b32_e32 v234, 4, v0
	s_barrier
	ds_write_b128 v234, v[52:55]
	ds_write_b128 v234, v[56:59] offset:16
	ds_write_b128 v234, v[64:67] offset:32
	;; [unrolled: 1-line block ×12, first 2 shown]
	s_waitcnt lgkmcnt(0)
	s_barrier
	ds_read_b128 v[112:115], v252
	ds_read_b128 v[108:111], v252 offset:2496
	ds_read_b128 v[144:147], v252 offset:16224
	;; [unrolled: 1-line block ×11, first 2 shown]
	v_accvgpr_write_b32 a24, v36
	v_accvgpr_write_b32 a20, v30
	v_accvgpr_write_b32 a32, v44
	v_accvgpr_write_b32 a28, v40
	v_accvgpr_write_b32 a36, v48
	v_accvgpr_write_b32 a25, v37
	v_accvgpr_write_b32 a26, v38
	v_accvgpr_write_b32 a27, v39
	v_accvgpr_write_b32 a21, v31
	v_accvgpr_write_b32 a22, v32
	v_accvgpr_write_b32 a23, v33
	v_accvgpr_write_b32 a33, v45
	v_accvgpr_write_b32 a34, v46
	v_accvgpr_write_b32 a35, v47
	v_accvgpr_write_b32 a29, v41
	v_accvgpr_write_b32 a30, v42
	v_accvgpr_write_b32 a31, v43
	v_accvgpr_write_b32 a37, v49
	v_accvgpr_write_b32 a38, v50
	v_accvgpr_write_b32 a39, v51
	v_cmp_gt_u16_e32 vcc, 39, v34
                                        ; implicit-def: $vgpr140_vgpr141
                                        ; implicit-def: $vgpr124_vgpr125
                                        ; implicit-def: $vgpr116_vgpr117
	s_and_saveexec_b64 s[0:1], vcc
	s_cbranch_execz .LBB0_3
; %bb.2:
	ds_read_b128 v[88:91], v252 offset:7488
	ds_read_b128 v[116:119], v252 offset:15600
	;; [unrolled: 1-line block ×4, first 2 shown]
.LBB0_3:
	s_or_b64 exec, exec, s[0:1]
	s_movk_i32 s0, 0x4f
	v_mul_lo_u16_sdwa v0, v34, s0 dst_sel:DWORD dst_unused:UNUSED_PAD src0_sel:BYTE_0 src1_sel:DWORD
	v_lshrrev_b16_e32 v2, 10, v0
	v_mul_lo_u16_e32 v0, 13, v2
	v_sub_u16_e32 v0, v34, v0
	v_and_b32_e32 v3, 0xff, v0
	v_mad_u64_u32 v[4:5], s[0:1], v3, 48, s[10:11]
	s_mov_b64 s[0:1], 0x9c
	s_nop 0
	v_lshl_add_u64 v[0:1], v[34:35], 0, s[0:1]
	s_movk_i32 s2, 0x4ec5
	v_mul_u32_u24_sdwa v1, v0, s2 dst_sel:DWORD dst_unused:UNUSED_PAD src0_sel:WORD_0 src1_sel:DWORD
	v_lshrrev_b32_e32 v1, 18, v1
	global_load_dwordx4 v[52:55], v[4:5], off offset:16
	global_load_dwordx4 v[56:59], v[4:5], off
	global_load_dwordx4 v[60:63], v[4:5], off offset:32
	v_mul_lo_u16_e32 v4, 13, v1
	v_sub_u16_e32 v28, v0, v4
	v_mul_lo_u16_e32 v6, 48, v28
	v_mov_b32_e32 v7, 0
	s_mov_b64 s[0:1], 0x138
	v_lshl_add_u64 v[4:5], s[10:11], 0, v[6:7]
	v_lshl_add_u64 v[204:205], v[34:35], 0, s[0:1]
	global_load_dwordx4 v[72:75], v[4:5], off
	global_load_dwordx4 v[64:67], v[4:5], off offset:32
	global_load_dwordx4 v[68:71], v[4:5], off offset:16
	v_mul_u32_u24_sdwa v4, v204, s2 dst_sel:DWORD dst_unused:UNUSED_PAD src0_sel:WORD_0 src1_sel:DWORD
	v_lshrrev_b32_e32 v29, 18, v4
	v_mul_lo_u16_e32 v4, 13, v29
	v_sub_u16_e32 v30, v204, v4
	v_mul_lo_u16_e32 v6, 48, v30
	v_lshl_add_u64 v[4:5], s[10:11], 0, v[6:7]
	global_load_dwordx4 v[84:87], v[4:5], off
	global_load_dwordx4 v[80:83], v[4:5], off offset:16
	global_load_dwordx4 v[76:79], v[4:5], off offset:32
	v_add_u16_e32 v5, 0x1d4, v34
	v_mul_u32_u24_e32 v4, 0x4ec5, v5
	v_lshrrev_b32_e32 v4, 18, v4
	v_accvgpr_write_b32 a1, v4
	v_mul_lo_u16_e32 v4, 13, v4
	v_sub_u16_e32 v4, v5, v4
	v_mul_lo_u16_e32 v6, 48, v4
	v_lshl_add_u64 v[6:7], s[10:11], 0, v[6:7]
	global_load_dwordx4 v[104:107], v[6:7], off
	global_load_dwordx4 v[100:103], v[6:7], off offset:16
	global_load_dwordx4 v[96:99], v[6:7], off offset:32
	v_mul_u32_u24_e32 v2, 52, v2
	v_mad_legacy_u16 v1, v1, 52, v28
	v_add_lshl_u32 v2, v2, v3, 4
	v_lshlrev_b32_e32 v1, 4, v1
	s_waitcnt lgkmcnt(0)
	s_barrier
	v_accvgpr_write_b32 a57, v1
	v_accvgpr_write_b32 a3, v4
	;; [unrolled: 1-line block ×3, first 2 shown]
	s_waitcnt vmcnt(11)
	v_mul_f64 v[10:11], v[146:147], v[54:55]
	s_waitcnt vmcnt(10)
	v_mul_f64 v[6:7], v[158:159], v[58:59]
	v_mul_f64 v[8:9], v[156:157], v[58:59]
	;; [unrolled: 1-line block ×3, first 2 shown]
	s_waitcnt vmcnt(9)
	v_mul_f64 v[14:15], v[162:163], v[62:63]
	v_mul_f64 v[16:17], v[160:161], v[62:63]
	v_fma_f64 v[6:7], v[156:157], v[56:57], -v[6:7]
	v_fmac_f64_e32 v[8:9], v[158:159], v[56:57]
	v_fma_f64 v[10:11], v[144:145], v[52:53], -v[10:11]
	v_fmac_f64_e32 v[12:13], v[146:147], v[52:53]
	s_waitcnt vmcnt(6)
	v_mul_f64 v[22:23], v[134:135], v[70:71]
	v_fma_f64 v[14:15], v[160:161], v[60:61], -v[14:15]
	v_fmac_f64_e32 v[16:17], v[162:163], v[60:61]
	v_mul_f64 v[24:25], v[132:133], v[70:71]
	v_mul_f64 v[144:145], v[152:153], v[66:67]
	v_fma_f64 v[22:23], v[132:133], v[68:69], -v[22:23]
	s_waitcnt vmcnt(5)
	v_mul_f64 v[132:133], v[122:123], v[86:87]
	v_mul_f64 v[18:19], v[150:151], v[74:75]
	;; [unrolled: 1-line block ×4, first 2 shown]
	v_fmac_f64_e32 v[144:145], v[154:155], v[64:65]
	v_mul_f64 v[146:147], v[120:121], v[86:87]
	v_fma_f64 v[154:155], v[120:121], v[84:85], -v[132:133]
	v_add_f64 v[10:11], v[112:113], -v[10:11]
	s_waitcnt vmcnt(2)
	v_mul_f64 v[120:121], v[118:119], v[106:107]
	v_mul_f64 v[160:161], v[116:117], v[106:107]
	v_add_f64 v[12:13], v[114:115], -v[12:13]
	v_add_f64 v[14:15], v[6:7], -v[14:15]
	v_add_f64 v[16:17], v[8:9], -v[16:17]
	v_fma_f64 v[18:19], v[148:149], v[72:73], -v[18:19]
	v_fmac_f64_e32 v[20:21], v[150:151], v[72:73]
	v_fmac_f64_e32 v[24:25], v[134:135], v[68:69]
	v_fma_f64 v[26:27], v[152:153], v[64:65], -v[26:27]
	v_fmac_f64_e32 v[146:147], v[122:123], v[84:85]
	s_waitcnt vmcnt(1)
	v_mul_f64 v[122:123], v[126:127], v[102:103]
	v_fma_f64 v[164:165], v[116:117], v[104:105], -v[120:121]
	v_fmac_f64_e32 v[160:161], v[118:119], v[104:105]
	v_fma_f64 v[116:117], v[112:113], 2.0, -v[10:11]
	v_fma_f64 v[118:119], v[114:115], 2.0, -v[12:13]
	;; [unrolled: 1-line block ×4, first 2 shown]
	v_mul_f64 v[134:135], v[130:131], v[82:83]
	v_mul_f64 v[148:149], v[128:129], v[82:83]
	;; [unrolled: 1-line block ×5, first 2 shown]
	v_fma_f64 v[166:167], v[124:125], v[100:101], -v[122:123]
	v_add_f64 v[112:113], v[116:117], -v[6:7]
	v_add_f64 v[114:115], v[118:119], -v[8:9]
	;; [unrolled: 1-line block ×3, first 2 shown]
	v_add_f64 v[122:123], v[12:13], v[14:15]
	v_add_f64 v[6:7], v[108:109], -v[22:23]
	v_add_f64 v[8:9], v[110:111], -v[24:25]
	;; [unrolled: 1-line block ×4, first 2 shown]
	v_fma_f64 v[156:157], v[128:129], v[80:81], -v[134:135]
	v_fmac_f64_e32 v[148:149], v[130:131], v[80:81]
	v_fma_f64 v[150:151], v[136:137], v[76:77], -v[150:151]
	v_fmac_f64_e32 v[152:153], v[138:139], v[76:77]
	s_waitcnt vmcnt(0)
	v_mul_f64 v[128:129], v[142:143], v[98:99]
	v_fmac_f64_e32 v[162:163], v[126:127], v[100:101]
	v_fma_f64 v[124:125], v[10:11], 2.0, -v[120:121]
	v_fma_f64 v[126:127], v[12:13], 2.0, -v[122:123]
	;; [unrolled: 1-line block ×6, first 2 shown]
	v_add_f64 v[132:133], v[6:7], -v[16:17]
	v_add_f64 v[134:135], v[8:9], v[14:15]
	v_fma_f64 v[168:169], v[140:141], v[96:97], -v[128:129]
	v_mul_f64 v[140:141], v[140:141], v[98:99]
	v_add_f64 v[108:109], v[10:11], -v[18:19]
	v_add_f64 v[110:111], v[12:13], -v[20:21]
	v_fma_f64 v[136:137], v[6:7], 2.0, -v[132:133]
	v_fma_f64 v[138:139], v[8:9], 2.0, -v[134:135]
	v_add_f64 v[6:7], v[92:93], -v[156:157]
	v_add_f64 v[8:9], v[94:95], -v[148:149]
	;; [unrolled: 1-line block ×4, first 2 shown]
	v_fmac_f64_e32 v[140:141], v[142:143], v[96:97]
	v_fma_f64 v[128:129], v[10:11], 2.0, -v[108:109]
	v_fma_f64 v[130:131], v[12:13], 2.0, -v[110:111]
	;; [unrolled: 1-line block ×6, first 2 shown]
	v_add_f64 v[152:153], v[6:7], -v[16:17]
	v_add_f64 v[154:155], v[8:9], v[14:15]
	v_fma_f64 v[116:117], v[116:117], 2.0, -v[112:113]
	v_fma_f64 v[118:119], v[118:119], 2.0, -v[114:115]
	v_add_f64 v[92:93], v[10:11], -v[18:19]
	v_add_f64 v[94:95], v[12:13], -v[20:21]
	v_fma_f64 v[156:157], v[6:7], 2.0, -v[152:153]
	v_fma_f64 v[158:159], v[8:9], 2.0, -v[154:155]
	v_add_f64 v[6:7], v[88:89], -v[166:167]
	v_add_f64 v[8:9], v[90:91], -v[162:163]
	;; [unrolled: 1-line block ×4, first 2 shown]
	v_fma_f64 v[148:149], v[10:11], 2.0, -v[92:93]
	v_fma_f64 v[150:151], v[12:13], 2.0, -v[94:95]
	;; [unrolled: 1-line block ×6, first 2 shown]
	ds_write_b128 v2, v[116:119]
	ds_write_b128 v2, v[124:127] offset:208
	ds_write_b128 v2, v[112:115] offset:416
	;; [unrolled: 1-line block ×3, first 2 shown]
	ds_write_b128 v1, v[128:131]
	ds_write_b128 v1, v[136:139] offset:208
	ds_write_b128 v1, v[108:111] offset:416
	;; [unrolled: 1-line block ×3, first 2 shown]
	v_mad_legacy_u16 v1, v29, 52, v30
	v_add_f64 v[168:169], v[10:11], -v[18:19]
	v_add_f64 v[170:171], v[12:13], -v[20:21]
	;; [unrolled: 1-line block ×3, first 2 shown]
	v_add_f64 v[142:143], v[8:9], v[14:15]
	v_lshlrev_b32_e32 v1, 4, v1
	v_fma_f64 v[144:145], v[10:11], 2.0, -v[168:169]
	v_fma_f64 v[146:147], v[12:13], 2.0, -v[170:171]
	;; [unrolled: 1-line block ×4, first 2 shown]
	v_accvgpr_write_b32 a58, v1
	ds_write_b128 v1, v[148:151]
	ds_write_b128 v1, v[156:159] offset:208
	ds_write_b128 v1, v[92:95] offset:416
	;; [unrolled: 1-line block ×3, first 2 shown]
	s_and_saveexec_b64 s[0:1], vcc
	s_cbranch_execz .LBB0_5
; %bb.4:
	v_accvgpr_read_b32 v1, a1
	v_accvgpr_read_b32 v2, a3
	v_mad_legacy_u16 v1, v1, 52, v2
	v_lshlrev_b32_e32 v1, 4, v1
	ds_write_b128 v1, v[144:147]
	ds_write_b128 v1, v[164:167] offset:208
	ds_write_b128 v1, v[168:171] offset:416
	;; [unrolled: 1-line block ×3, first 2 shown]
.LBB0_5:
	s_or_b64 exec, exec, s[0:1]
	s_waitcnt lgkmcnt(0)
	s_barrier
	ds_read_b128 v[160:163], v252
	ds_read_b128 v[156:159], v252 offset:2496
	ds_read_b128 v[196:199], v252 offset:10816
	;; [unrolled: 1-line block ×11, first 2 shown]
	v_cmp_gt_u16_e64 s[0:1], 52, v34
	s_and_saveexec_b64 s[2:3], s[0:1]
	s_cbranch_execz .LBB0_7
; %bb.6:
	ds_read_b128 v[144:147], v252 offset:9984
	ds_read_b128 v[164:167], v252 offset:20800
	;; [unrolled: 1-line block ×3, first 2 shown]
.LBB0_7:
	s_or_b64 exec, exec, s[2:3]
	s_movk_i32 s2, 0x4f
	v_mul_lo_u16_sdwa v1, v34, s2 dst_sel:DWORD dst_unused:UNUSED_PAD src0_sel:BYTE_0 src1_sel:DWORD
	v_lshrrev_b16_e32 v2, 12, v1
	v_mul_lo_u16_e32 v1, 52, v2
	v_sub_u16_e32 v1, v34, v1
	v_and_b32_e32 v3, 0xff, v1
	v_lshlrev_b32_e32 v1, 5, v3
	s_movk_i32 s2, 0x4ec5
	global_load_dwordx4 v[108:111], v1, s[10:11] offset:640
	global_load_dwordx4 v[112:115], v1, s[10:11] offset:624
	v_mul_u32_u24_sdwa v1, v0, s2 dst_sel:DWORD dst_unused:UNUSED_PAD src0_sel:WORD_0 src1_sel:DWORD
	v_lshrrev_b32_e32 v4, 20, v1
	v_mul_lo_u16_e32 v1, 52, v4
	v_sub_u16_e32 v28, v0, v1
	v_lshlrev_b16_e32 v0, 5, v28
	v_mov_b32_e32 v1, 0
	v_lshl_add_u64 v[6:7], s[10:11], 0, v[0:1]
	v_mul_u32_u24_sdwa v0, v204, s2 dst_sel:DWORD dst_unused:UNUSED_PAD src0_sel:WORD_0 src1_sel:DWORD
	v_lshrrev_b32_e32 v29, 20, v0
	v_mul_lo_u16_e32 v0, 52, v29
	v_sub_u16_e32 v30, v204, v0
	v_lshlrev_b16_e32 v0, 5, v30
	global_load_dwordx4 v[120:123], v[6:7], off offset:624
	global_load_dwordx4 v[116:119], v[6:7], off offset:640
	v_lshl_add_u64 v[6:7], s[10:11], 0, v[0:1]
	v_mul_u32_u24_e32 v0, 0x4ec5, v5
	v_lshrrev_b32_e32 v31, 20, v0
	v_mul_lo_u16_e32 v0, 52, v31
	v_sub_u16_e32 v5, v5, v0
	v_lshlrev_b16_e32 v0, 5, v5
	global_load_dwordx4 v[128:131], v[6:7], off offset:624
	global_load_dwordx4 v[124:127], v[6:7], off offset:640
	v_lshl_add_u64 v[6:7], s[10:11], 0, v[0:1]
	v_add_u32_e32 v0, 0x270, v34
	global_load_dwordx4 v[136:139], v[6:7], off offset:624
	global_load_dwordx4 v[132:135], v[6:7], off offset:640
	v_mul_u32_u24_sdwa v6, v0, s2 dst_sel:DWORD dst_unused:UNUSED_PAD src0_sel:WORD_0 src1_sel:DWORD
	v_lshrrev_b32_e32 v6, 20, v6
	v_mul_lo_u16_e32 v6, 52, v6
	v_sub_u16_e32 v32, v0, v6
	v_lshlrev_b16_e32 v0, 5, v32
	v_lshl_add_u64 v[6:7], s[10:11], 0, v[0:1]
	global_load_dwordx4 v[92:95], v[6:7], off offset:624
	global_load_dwordx4 v[88:91], v[6:7], off offset:640
	s_mov_b32 s2, 0xe8584caa
	s_mov_b32 s3, 0x3febb67a
	;; [unrolled: 1-line block ×4, first 2 shown]
	v_mul_u32_u24_e32 v0, 0x9c, v2
	v_add_lshl_u32 v0, v0, v3, 4
	s_waitcnt lgkmcnt(0)
	s_barrier
	v_accvgpr_write_b32 a60, v0
	s_waitcnt vmcnt(9)
	v_mul_f64 v[12:13], v[200:201], v[110:111]
	s_waitcnt vmcnt(8)
	v_mul_f64 v[8:9], v[196:197], v[114:115]
	v_mul_f64 v[6:7], v[198:199], v[114:115]
	;; [unrolled: 1-line block ×3, first 2 shown]
	v_fmac_f64_e32 v[8:9], v[198:199], v[112:113]
	v_fmac_f64_e32 v[12:13], v[202:203], v[108:109]
	v_fma_f64 v[6:7], v[196:197], v[112:113], -v[6:7]
	v_fma_f64 v[10:11], v[200:201], v[108:109], -v[10:11]
	s_waitcnt vmcnt(7)
	v_mul_f64 v[14:15], v[190:191], v[122:123]
	s_waitcnt vmcnt(6)
	v_mul_f64 v[20:21], v[192:193], v[118:119]
	v_mul_f64 v[18:19], v[194:195], v[118:119]
	v_fmac_f64_e32 v[20:21], v[194:195], v[116:117]
	v_mul_f64 v[16:17], v[188:189], v[122:123]
	v_fma_f64 v[14:15], v[188:189], v[120:121], -v[14:15]
	v_fma_f64 v[18:19], v[192:193], v[116:117], -v[18:19]
	s_waitcnt vmcnt(5)
	v_mul_f64 v[22:23], v[182:183], v[130:131]
	v_mul_f64 v[24:25], v[180:181], v[130:131]
	v_fma_f64 v[22:23], v[180:181], v[128:129], -v[22:23]
	s_waitcnt vmcnt(3)
	v_mul_f64 v[194:195], v[172:173], v[138:139]
	v_mul_f64 v[180:181], v[174:175], v[138:139]
	v_fmac_f64_e32 v[194:195], v[174:175], v[136:137]
	v_mul_f64 v[26:27], v[186:187], v[126:127]
	v_mul_f64 v[192:193], v[184:185], v[126:127]
	s_waitcnt vmcnt(2)
	v_mul_f64 v[196:197], v[176:177], v[134:135]
	v_add_f64 v[188:189], v[8:9], -v[12:13]
	v_fma_f64 v[198:199], v[172:173], v[136:137], -v[180:181]
	s_waitcnt vmcnt(0)
	v_mul_f64 v[174:175], v[168:169], v[90:91]
	v_mul_f64 v[180:181], v[170:171], v[90:91]
	v_fmac_f64_e32 v[174:175], v[170:171], v[88:89]
	v_add_f64 v[170:171], v[162:163], v[8:9]
	v_add_f64 v[8:9], v[8:9], v[12:13]
	v_fmac_f64_e32 v[24:25], v[182:183], v[128:129]
	v_fma_f64 v[26:27], v[184:185], v[124:125], -v[26:27]
	v_fmac_f64_e32 v[192:193], v[186:187], v[124:125]
	v_mul_f64 v[182:183], v[178:179], v[134:135]
	v_add_f64 v[184:185], v[160:161], v[6:7]
	v_add_f64 v[186:187], v[6:7], v[10:11]
	v_fmac_f64_e32 v[196:197], v[178:179], v[132:133]
	v_mul_f64 v[178:179], v[166:167], v[94:95]
	v_fmac_f64_e32 v[162:163], -0.5, v[8:9]
	v_add_f64 v[6:7], v[6:7], -v[10:11]
	v_mul_f64 v[172:173], v[164:165], v[94:95]
	v_fma_f64 v[164:165], v[164:165], v[92:93], -v[178:179]
	v_add_f64 v[178:179], v[170:171], v[12:13]
	v_fma_f64 v[170:171], s[14:15], v[6:7], v[162:163]
	v_fmac_f64_e32 v[162:163], s[2:3], v[6:7]
	v_add_f64 v[6:7], v[156:157], v[14:15]
	v_fmac_f64_e32 v[16:17], v[190:191], v[120:121]
	v_fmac_f64_e32 v[172:173], v[166:167], v[92:93]
	v_fma_f64 v[166:167], v[168:169], v[88:89], -v[180:181]
	v_add_f64 v[180:181], v[6:7], v[18:19]
	v_add_f64 v[6:7], v[14:15], v[18:19]
	v_fmac_f64_e32 v[156:157], -0.5, v[6:7]
	v_add_f64 v[6:7], v[16:17], -v[20:21]
	v_fma_f64 v[210:211], v[176:177], v[132:133], -v[182:183]
	v_add_f64 v[176:177], v[184:185], v[10:11]
	v_fma_f64 v[184:185], s[2:3], v[6:7], v[156:157]
	v_fmac_f64_e32 v[156:157], s[14:15], v[6:7]
	v_add_f64 v[6:7], v[158:159], v[16:17]
	v_add_f64 v[182:183], v[6:7], v[20:21]
	;; [unrolled: 1-line block ×3, first 2 shown]
	v_fmac_f64_e32 v[158:159], -0.5, v[6:7]
	v_add_f64 v[6:7], v[14:15], -v[18:19]
	v_fmac_f64_e32 v[160:161], -0.5, v[186:187]
	v_fma_f64 v[186:187], s[14:15], v[6:7], v[158:159]
	v_fmac_f64_e32 v[158:159], s[2:3], v[6:7]
	v_add_f64 v[6:7], v[152:153], v[22:23]
	v_fma_f64 v[168:169], s[2:3], v[188:189], v[160:161]
	v_fmac_f64_e32 v[160:161], s[14:15], v[188:189]
	v_add_f64 v[188:189], v[6:7], v[26:27]
	v_add_f64 v[6:7], v[22:23], v[26:27]
	v_fmac_f64_e32 v[152:153], -0.5, v[6:7]
	v_add_f64 v[6:7], v[24:25], -v[192:193]
	v_fma_f64 v[200:201], s[2:3], v[6:7], v[152:153]
	v_fmac_f64_e32 v[152:153], s[14:15], v[6:7]
	v_add_f64 v[6:7], v[154:155], v[24:25]
	v_add_f64 v[190:191], v[6:7], v[192:193]
	v_add_f64 v[6:7], v[24:25], v[192:193]
	v_fmac_f64_e32 v[154:155], -0.5, v[6:7]
	v_add_f64 v[6:7], v[22:23], -v[26:27]
	v_fma_f64 v[202:203], s[14:15], v[6:7], v[154:155]
	v_fmac_f64_e32 v[154:155], s[2:3], v[6:7]
	v_add_f64 v[6:7], v[148:149], v[198:199]
	;; [unrolled: 7-line block ×4, first 2 shown]
	v_fma_f64 v[196:197], -0.5, v[6:7], v[144:145]
	v_add_f64 v[6:7], v[172:173], -v[174:175]
	v_fma_f64 v[192:193], s[2:3], v[6:7], v[196:197]
	v_fmac_f64_e32 v[196:197], s[14:15], v[6:7]
	v_add_f64 v[6:7], v[172:173], v[174:175]
	v_fma_f64 v[198:199], -0.5, v[6:7], v[146:147]
	v_add_f64 v[6:7], v[164:165], -v[166:167]
	v_fma_f64 v[194:195], s[14:15], v[6:7], v[198:199]
	v_fmac_f64_e32 v[198:199], s[2:3], v[6:7]
	s_movk_i32 s2, 0x9c
	ds_write_b128 v0, v[176:179]
	ds_write_b128 v0, v[168:171] offset:832
	ds_write_b128 v0, v[160:163] offset:1664
	v_mad_legacy_u16 v0, v4, s2, v28
	v_lshlrev_b32_e32 v0, 4, v0
	ds_write_b128 v0, v[180:183]
	ds_write_b128 v0, v[184:187] offset:832
	v_accvgpr_write_b32 a61, v0
	ds_write_b128 v0, v[156:159] offset:1664
	v_mad_legacy_u16 v0, v29, s2, v30
	v_lshlrev_b32_e32 v0, 4, v0
	ds_write_b128 v0, v[188:191]
	ds_write_b128 v0, v[200:203] offset:832
	v_accvgpr_write_b32 a62, v0
	;; [unrolled: 6-line block ×3, first 2 shown]
	ds_write_b128 v0, v[148:151] offset:1664
	v_lshlrev_b32_e32 v0, 4, v32
	v_accvgpr_write_b32 a59, v0
	s_and_saveexec_b64 s[2:3], s[0:1]
	s_cbranch_execz .LBB0_9
; %bb.8:
	v_add_f64 v[6:7], v[146:147], v[172:173]
	v_add_f64 v[146:147], v[6:7], v[174:175]
	;; [unrolled: 1-line block ×4, first 2 shown]
	v_accvgpr_read_b32 v0, a59
	ds_write_b128 v0, v[144:147] offset:29952
	ds_write_b128 v0, v[192:195] offset:30784
	;; [unrolled: 1-line block ×3, first 2 shown]
.LBB0_9:
	s_or_b64 exec, exec, s[2:3]
	s_movk_i32 s2, 0xc0
	v_mov_b64_e32 v[6:7], s[10:11]
	v_mad_u64_u32 v[6:7], s[2:3], v34, s2, v[6:7]
	s_waitcnt lgkmcnt(0)
	s_barrier
	global_load_dwordx4 v[156:159], v[6:7], off offset:2288
	global_load_dwordx4 v[152:155], v[6:7], off offset:2304
	;; [unrolled: 1-line block ×12, first 2 shown]
	ds_read_b128 v[236:239], v252
	ds_read_b128 v[200:203], v252 offset:2496
	ds_read_b128 v[208:211], v252 offset:4992
	;; [unrolled: 1-line block ×12, first 2 shown]
	v_accvgpr_write_b32 a0, v34
	v_mov_b32_e32 v253, v1
	v_lshl_add_u64 v[0:1], s[8:9], 0, v[252:253]
	s_mov_b32 s20, 0x4267c47c
	s_mov_b32 s14, 0x42a4c3d2
	;; [unrolled: 1-line block ×29, first 2 shown]
	s_movk_i32 s2, 0x7000
	s_waitcnt vmcnt(11) lgkmcnt(11)
	v_mul_f64 v[26:27], v[200:201], v[158:159]
	v_mul_f64 v[232:233], v[202:203], v[158:159]
	s_waitcnt vmcnt(10) lgkmcnt(10)
	v_mul_f64 v[30:31], v[208:209], v[154:155]
	v_fmac_f64_e32 v[26:27], v[202:203], v[156:157]
	v_mul_f64 v[28:29], v[210:211], v[154:155]
	s_waitcnt vmcnt(9) lgkmcnt(9)
	v_mul_f64 v[228:229], v[216:217], v[150:151]
	s_waitcnt vmcnt(8) lgkmcnt(8)
	v_mul_f64 v[220:221], v[224:225], v[146:147]
	v_fma_f64 v[254:255], v[200:201], v[156:157], -v[232:233]
	s_waitcnt vmcnt(3) lgkmcnt(3)
	v_mul_f64 v[222:223], v[10:11], v[190:191]
	v_mul_f64 v[44:45], v[12:13], v[190:191]
	v_fmac_f64_e32 v[30:31], v[210:211], v[152:153]
	v_fmac_f64_e32 v[222:223], v[12:13], v[188:189]
	v_add_f64 v[12:13], v[238:239], v[26:27]
	v_mul_f64 v[32:33], v[218:219], v[150:151]
	v_mul_f64 v[34:35], v[226:227], v[146:147]
	v_fma_f64 v[28:29], v[208:209], v[152:153], -v[28:29]
	v_fmac_f64_e32 v[228:229], v[218:219], v[148:149]
	v_fmac_f64_e32 v[220:221], v[226:227], v[144:145]
	v_fma_f64 v[226:227], v[10:11], v[188:189], -v[44:45]
	v_add_f64 v[10:11], v[236:237], v[254:255]
	v_add_f64 v[12:13], v[12:13], v[30:31]
	v_mul_f64 v[212:213], v[240:241], v[174:175]
	v_fma_f64 v[232:233], v[216:217], v[148:149], -v[32:33]
	v_add_f64 v[10:11], v[10:11], v[28:29]
	v_add_f64 v[12:13], v[12:13], v[228:229]
	v_mul_f64 v[36:37], v[242:243], v[174:175]
	v_mul_f64 v[204:205], v[244:245], v[170:171]
	v_fma_f64 v[224:225], v[224:225], v[144:145], -v[34:35]
	v_fmac_f64_e32 v[212:213], v[242:243], v[172:173]
	v_add_f64 v[10:11], v[10:11], v[232:233]
	v_add_f64 v[12:13], v[12:13], v[220:221]
	v_mul_f64 v[38:39], v[246:247], v[170:171]
	v_mul_f64 v[206:207], v[248:249], v[166:167]
	v_fma_f64 v[216:217], v[240:241], v[172:173], -v[36:37]
	v_fmac_f64_e32 v[204:205], v[246:247], v[168:169]
	;; [unrolled: 6-line block ×3, first 2 shown]
	v_add_f64 v[10:11], v[10:11], v[216:217]
	v_add_f64 v[12:13], v[12:13], v[204:205]
	v_mul_f64 v[42:43], v[8:9], v[162:163]
	v_fma_f64 v[210:211], v[248:249], v[164:165], -v[40:41]
	v_fmac_f64_e32 v[214:215], v[8:9], v[160:161]
	v_add_f64 v[10:11], v[10:11], v[208:209]
	v_add_f64 v[12:13], v[12:13], v[206:207]
	s_waitcnt vmcnt(2) lgkmcnt(2)
	v_mul_f64 v[230:231], v[14:15], v[186:187]
	v_fma_f64 v[218:219], v[6:7], v[160:161], -v[42:43]
	v_add_f64 v[10:11], v[10:11], v[210:211]
	v_add_f64 v[12:13], v[12:13], v[214:215]
	v_mul_f64 v[46:47], v[16:17], v[186:187]
	s_waitcnt vmcnt(1) lgkmcnt(1)
	v_mul_f64 v[50:51], v[18:19], v[182:183]
	v_fmac_f64_e32 v[230:231], v[16:17], v[184:185]
	v_add_f64 v[10:11], v[10:11], v[218:219]
	v_add_f64 v[12:13], v[12:13], v[222:223]
	v_mul_f64 v[48:49], v[20:21], v[182:183]
	s_waitcnt vmcnt(0) lgkmcnt(0)
	v_mul_f64 v[2:3], v[22:23], v[178:179]
	v_fma_f64 v[6:7], v[14:15], v[184:185], -v[46:47]
	v_fmac_f64_e32 v[50:51], v[20:21], v[180:181]
	v_add_f64 v[10:11], v[10:11], v[226:227]
	v_add_f64 v[12:13], v[12:13], v[230:231]
	v_mul_f64 v[4:5], v[24:25], v[178:179]
	v_fma_f64 v[8:9], v[18:19], v[180:181], -v[48:49]
	v_fmac_f64_e32 v[2:3], v[24:25], v[176:177]
	v_add_f64 v[10:11], v[10:11], v[6:7]
	v_add_f64 v[12:13], v[12:13], v[50:51]
	v_fma_f64 v[4:5], v[22:23], v[176:177], -v[4:5]
	v_add_f64 v[10:11], v[10:11], v[8:9]
	v_add_f64 v[202:203], v[12:13], v[2:3]
	;; [unrolled: 1-line block ×3, first 2 shown]
	v_add_f64 v[2:3], v[26:27], -v[2:3]
	v_add_f64 v[200:201], v[10:11], v[4:5]
	v_add_f64 v[10:11], v[254:255], v[4:5]
	v_add_f64 v[4:5], v[254:255], -v[4:5]
	v_mul_f64 v[14:15], v[2:3], s[20:21]
	v_mul_f64 v[22:23], v[2:3], s[14:15]
	;; [unrolled: 1-line block ×6, first 2 shown]
	v_fma_f64 v[16:17], v[10:11], s[22:23], -v[14:15]
	v_mul_f64 v[18:19], v[4:5], s[20:21]
	v_fmac_f64_e32 v[14:15], s[22:23], v[10:11]
	v_fma_f64 v[24:25], v[10:11], s[16:17], -v[22:23]
	v_mul_f64 v[26:27], v[4:5], s[14:15]
	v_fmac_f64_e32 v[22:23], s[16:17], v[10:11]
	v_fma_f64 v[36:37], v[10:11], s[10:11], -v[34:35]
	v_mul_f64 v[38:39], v[4:5], s[8:9]
	v_fmac_f64_e32 v[34:35], s[10:11], v[10:11]
	v_fma_f64 v[44:45], v[10:11], s[24:25], -v[42:43]
	v_mul_f64 v[46:47], v[4:5], s[18:19]
	v_fmac_f64_e32 v[42:43], s[24:25], v[10:11]
	v_fma_f64 v[242:243], v[10:11], s[28:29], -v[240:241]
	v_mul_f64 v[244:245], v[4:5], s[26:27]
	v_fmac_f64_e32 v[240:241], s[28:29], v[10:11]
	v_fma_f64 v[248:249], v[10:11], s[36:37], -v[2:3]
	v_mul_f64 v[4:5], v[4:5], s[34:35]
	v_fmac_f64_e32 v[2:3], s[36:37], v[10:11]
	v_add_f64 v[10:11], v[28:29], v[8:9]
	v_add_f64 v[8:9], v[28:29], -v[8:9]
	v_add_f64 v[28:29], v[30:31], -v[50:51]
	v_fma_f64 v[20:21], s[22:23], v[12:13], v[18:19]
	v_fma_f64 v[18:19], v[12:13], s[22:23], -v[18:19]
	v_fma_f64 v[32:33], s[16:17], v[12:13], v[26:27]
	v_fma_f64 v[26:27], v[12:13], s[16:17], -v[26:27]
	;; [unrolled: 2-line block ×6, first 2 shown]
	v_add_f64 v[12:13], v[30:31], v[50:51]
	v_mul_f64 v[30:31], v[28:29], s[14:15]
	v_add_f64 v[16:17], v[236:237], v[16:17]
	v_fma_f64 v[50:51], v[10:11], s[16:17], -v[30:31]
	v_add_f64 v[14:15], v[236:237], v[14:15]
	v_add_f64 v[16:17], v[50:51], v[16:17]
	v_mul_f64 v[50:51], v[8:9], s[14:15]
	v_fmac_f64_e32 v[30:31], s[16:17], v[10:11]
	v_add_f64 v[18:19], v[238:239], v[18:19]
	v_add_f64 v[14:15], v[30:31], v[14:15]
	v_fma_f64 v[30:31], v[12:13], s[16:17], -v[50:51]
	v_add_f64 v[18:19], v[30:31], v[18:19]
	v_mul_f64 v[30:31], v[28:29], s[18:19]
	v_add_f64 v[24:25], v[236:237], v[24:25]
	v_add_f64 v[22:23], v[236:237], v[22:23]
	;; [unrolled: 1-line block ×10, first 2 shown]
	v_fma_f64 v[236:237], s[16:17], v[12:13], v[50:51]
	v_fma_f64 v[50:51], v[10:11], s[24:25], -v[30:31]
	v_add_f64 v[24:25], v[50:51], v[24:25]
	v_mul_f64 v[50:51], v[8:9], s[18:19]
	v_fmac_f64_e32 v[30:31], s[24:25], v[10:11]
	v_add_f64 v[26:27], v[238:239], v[26:27]
	v_add_f64 v[22:23], v[30:31], v[22:23]
	v_fma_f64 v[30:31], v[12:13], s[24:25], -v[50:51]
	v_add_f64 v[20:21], v[238:239], v[20:21]
	v_add_f64 v[26:27], v[30:31], v[26:27]
	v_mul_f64 v[30:31], v[28:29], s[34:35]
	v_add_f64 v[20:21], v[236:237], v[20:21]
	v_fma_f64 v[236:237], s[24:25], v[12:13], v[50:51]
	v_fma_f64 v[50:51], v[10:11], s[36:37], -v[30:31]
	v_add_f64 v[36:37], v[50:51], v[36:37]
	v_mul_f64 v[50:51], v[8:9], s[34:35]
	v_fmac_f64_e32 v[30:31], s[36:37], v[10:11]
	v_add_f64 v[38:39], v[238:239], v[38:39]
	v_add_f64 v[30:31], v[30:31], v[34:35]
	v_fma_f64 v[34:35], v[12:13], s[36:37], -v[50:51]
	v_add_f64 v[32:33], v[238:239], v[32:33]
	v_add_f64 v[34:35], v[34:35], v[38:39]
	v_mul_f64 v[38:39], v[28:29], s[38:39]
	v_add_f64 v[32:33], v[236:237], v[32:33]
	v_fma_f64 v[236:237], s[36:37], v[12:13], v[50:51]
	v_fma_f64 v[50:51], v[10:11], s[28:29], -v[38:39]
	v_add_f64 v[44:45], v[50:51], v[44:45]
	v_mul_f64 v[50:51], v[8:9], s[38:39]
	v_fmac_f64_e32 v[38:39], s[28:29], v[10:11]
	v_add_f64 v[40:41], v[238:239], v[40:41]
	v_add_f64 v[46:47], v[238:239], v[46:47]
	;; [unrolled: 1-line block ×3, first 2 shown]
	v_fma_f64 v[42:43], v[12:13], s[28:29], -v[50:51]
	v_add_f64 v[48:49], v[238:239], v[48:49]
	v_add_f64 v[40:41], v[236:237], v[40:41]
	v_fma_f64 v[236:237], s[28:29], v[12:13], v[50:51]
	v_add_f64 v[42:43], v[42:43], v[46:47]
	v_mul_f64 v[46:47], v[28:29], s[30:31]
	v_add_f64 v[48:49], v[236:237], v[48:49]
	v_fma_f64 v[50:51], v[10:11], s[10:11], -v[46:47]
	v_mul_f64 v[236:237], v[8:9], s[30:31]
	v_fmac_f64_e32 v[46:47], s[10:11], v[10:11]
	v_mul_f64 v[28:29], v[28:29], s[42:43]
	v_mul_f64 v[8:9], v[8:9], s[42:43]
	v_add_f64 v[246:247], v[238:239], v[246:247]
	v_add_f64 v[244:245], v[238:239], v[244:245]
	;; [unrolled: 1-line block ×5, first 2 shown]
	v_fma_f64 v[238:239], s[10:11], v[12:13], v[236:237]
	v_add_f64 v[46:47], v[46:47], v[240:241]
	v_fma_f64 v[236:237], v[12:13], s[10:11], -v[236:237]
	v_fma_f64 v[240:241], v[10:11], s[22:23], -v[28:29]
	v_fma_f64 v[242:243], s[22:23], v[12:13], v[8:9]
	v_fmac_f64_e32 v[28:29], s[22:23], v[10:11]
	v_fma_f64 v[8:9], v[12:13], s[22:23], -v[8:9]
	v_add_f64 v[12:13], v[228:229], -v[230:231]
	v_add_f64 v[2:3], v[28:29], v[2:3]
	v_add_f64 v[4:5], v[8:9], v[4:5]
	;; [unrolled: 1-line block ×3, first 2 shown]
	v_mul_f64 v[28:29], v[12:13], s[8:9]
	v_add_f64 v[10:11], v[228:229], v[230:231]
	v_add_f64 v[6:7], v[232:233], -v[6:7]
	v_fma_f64 v[228:229], v[8:9], s[10:11], -v[28:29]
	v_add_f64 v[16:17], v[228:229], v[16:17]
	v_mul_f64 v[228:229], v[6:7], s[8:9]
	v_fmac_f64_e32 v[28:29], s[10:11], v[8:9]
	v_add_f64 v[14:15], v[28:29], v[14:15]
	v_fma_f64 v[28:29], v[10:11], s[10:11], -v[228:229]
	v_add_f64 v[18:19], v[28:29], v[18:19]
	v_mul_f64 v[28:29], v[12:13], s[34:35]
	v_fma_f64 v[230:231], s[10:11], v[10:11], v[228:229]
	v_fma_f64 v[228:229], v[8:9], s[36:37], -v[28:29]
	v_add_f64 v[24:25], v[228:229], v[24:25]
	v_mul_f64 v[228:229], v[6:7], s[34:35]
	v_fmac_f64_e32 v[28:29], s[36:37], v[8:9]
	v_add_f64 v[22:23], v[28:29], v[22:23]
	v_fma_f64 v[28:29], v[10:11], s[36:37], -v[228:229]
	v_add_f64 v[26:27], v[28:29], v[26:27]
	v_mul_f64 v[28:29], v[12:13], s[40:41]
	v_add_f64 v[20:21], v[230:231], v[20:21]
	v_fma_f64 v[230:231], s[36:37], v[10:11], v[228:229]
	v_fma_f64 v[228:229], v[8:9], s[24:25], -v[28:29]
	v_add_f64 v[36:37], v[228:229], v[36:37]
	v_mul_f64 v[228:229], v[6:7], s[40:41]
	v_fmac_f64_e32 v[28:29], s[24:25], v[8:9]
	v_add_f64 v[28:29], v[28:29], v[30:31]
	v_fma_f64 v[30:31], v[10:11], s[24:25], -v[228:229]
	v_add_f64 v[30:31], v[30:31], v[34:35]
	v_mul_f64 v[34:35], v[12:13], s[42:43]
	v_add_f64 v[32:33], v[230:231], v[32:33]
	v_fma_f64 v[230:231], s[24:25], v[10:11], v[228:229]
	v_fma_f64 v[228:229], v[8:9], s[22:23], -v[34:35]
	v_add_f64 v[44:45], v[228:229], v[44:45]
	v_mul_f64 v[228:229], v[6:7], s[42:43]
	v_fmac_f64_e32 v[34:35], s[22:23], v[8:9]
	v_add_f64 v[34:35], v[34:35], v[38:39]
	v_fma_f64 v[38:39], v[10:11], s[22:23], -v[228:229]
	v_add_f64 v[38:39], v[38:39], v[42:43]
	v_mul_f64 v[42:43], v[12:13], s[14:15]
	v_add_f64 v[40:41], v[230:231], v[40:41]
	v_fma_f64 v[230:231], s[22:23], v[10:11], v[228:229]
	v_fma_f64 v[228:229], v[8:9], s[16:17], -v[42:43]
	v_add_f64 v[50:51], v[228:229], v[50:51]
	v_mul_f64 v[228:229], v[6:7], s[14:15]
	v_fmac_f64_e32 v[42:43], s[16:17], v[8:9]
	v_mul_f64 v[12:13], v[12:13], s[26:27]
	v_add_f64 v[48:49], v[230:231], v[48:49]
	v_fma_f64 v[230:231], s[16:17], v[10:11], v[228:229]
	v_add_f64 v[42:43], v[42:43], v[46:47]
	v_fma_f64 v[46:47], v[10:11], s[16:17], -v[228:229]
	v_fma_f64 v[228:229], v[8:9], s[28:29], -v[12:13]
	v_mul_f64 v[6:7], v[6:7], s[26:27]
	v_fmac_f64_e32 v[12:13], s[28:29], v[8:9]
	v_fma_f64 v[232:233], s[28:29], v[10:11], v[6:7]
	v_add_f64 v[2:3], v[12:13], v[2:3]
	v_fma_f64 v[6:7], v[10:11], s[28:29], -v[6:7]
	v_add_f64 v[12:13], v[220:221], -v[222:223]
	v_add_f64 v[4:5], v[6:7], v[4:5]
	v_add_f64 v[6:7], v[224:225], v[226:227]
	;; [unrolled: 1-line block ×3, first 2 shown]
	v_mul_f64 v[220:221], v[12:13], s[18:19]
	v_add_f64 v[10:11], v[224:225], -v[226:227]
	v_fma_f64 v[222:223], v[6:7], s[24:25], -v[220:221]
	v_add_f64 v[16:17], v[222:223], v[16:17]
	v_mul_f64 v[222:223], v[10:11], s[18:19]
	v_fmac_f64_e32 v[220:221], s[24:25], v[6:7]
	v_add_f64 v[14:15], v[220:221], v[14:15]
	v_fma_f64 v[220:221], v[8:9], s[24:25], -v[222:223]
	v_add_f64 v[18:19], v[220:221], v[18:19]
	v_mul_f64 v[220:221], v[12:13], s[38:39]
	v_fma_f64 v[224:225], s[24:25], v[8:9], v[222:223]
	v_fma_f64 v[222:223], v[6:7], s[28:29], -v[220:221]
	v_add_f64 v[24:25], v[222:223], v[24:25]
	v_mul_f64 v[222:223], v[10:11], s[38:39]
	v_fmac_f64_e32 v[220:221], s[28:29], v[6:7]
	v_add_f64 v[22:23], v[220:221], v[22:23]
	v_fma_f64 v[220:221], v[8:9], s[28:29], -v[222:223]
	v_add_f64 v[26:27], v[220:221], v[26:27]
	v_mul_f64 v[220:221], v[12:13], s[42:43]
	v_add_f64 v[20:21], v[224:225], v[20:21]
	v_fma_f64 v[224:225], s[28:29], v[8:9], v[222:223]
	v_fma_f64 v[222:223], v[6:7], s[22:23], -v[220:221]
	v_add_f64 v[36:37], v[222:223], v[36:37]
	v_mul_f64 v[222:223], v[10:11], s[42:43]
	v_fmac_f64_e32 v[220:221], s[22:23], v[6:7]
	v_add_f64 v[28:29], v[220:221], v[28:29]
	v_fma_f64 v[220:221], v[8:9], s[22:23], -v[222:223]
	v_add_f64 v[30:31], v[220:221], v[30:31]
	v_mul_f64 v[220:221], v[12:13], s[8:9]
	v_add_f64 v[32:33], v[224:225], v[32:33]
	;; [unrolled: 10-line block ×3, first 2 shown]
	v_fma_f64 v[224:225], s[10:11], v[8:9], v[222:223]
	v_fma_f64 v[222:223], v[6:7], s[36:37], -v[220:221]
	v_add_f64 v[236:237], v[236:237], v[244:245]
	v_add_f64 v[50:51], v[222:223], v[50:51]
	v_mul_f64 v[222:223], v[10:11], s[46:47]
	v_fmac_f64_e32 v[220:221], s[36:37], v[6:7]
	v_add_f64 v[46:47], v[46:47], v[236:237]
	v_add_f64 v[42:43], v[220:221], v[42:43]
	v_fma_f64 v[220:221], v[8:9], s[36:37], -v[222:223]
	v_mul_f64 v[12:13], v[12:13], s[44:45]
	v_add_f64 v[46:47], v[220:221], v[46:47]
	v_fma_f64 v[220:221], v[6:7], s[16:17], -v[12:13]
	v_mul_f64 v[10:11], v[10:11], s[44:45]
	v_fmac_f64_e32 v[12:13], s[16:17], v[6:7]
	v_add_f64 v[2:3], v[12:13], v[2:3]
	v_fma_f64 v[6:7], v[8:9], s[16:17], -v[10:11]
	v_add_f64 v[12:13], v[212:213], -v[214:215]
	v_add_f64 v[48:49], v[224:225], v[48:49]
	v_fma_f64 v[224:225], s[36:37], v[8:9], v[222:223]
	v_fma_f64 v[222:223], s[16:17], v[8:9], v[10:11]
	v_add_f64 v[4:5], v[6:7], v[4:5]
	v_add_f64 v[6:7], v[216:217], v[218:219]
	;; [unrolled: 1-line block ×3, first 2 shown]
	v_mul_f64 v[212:213], v[12:13], s[26:27]
	v_add_f64 v[10:11], v[216:217], -v[218:219]
	v_fma_f64 v[214:215], v[6:7], s[28:29], -v[212:213]
	v_add_f64 v[16:17], v[214:215], v[16:17]
	v_mul_f64 v[214:215], v[10:11], s[26:27]
	v_fmac_f64_e32 v[212:213], s[28:29], v[6:7]
	v_add_f64 v[14:15], v[212:213], v[14:15]
	v_fma_f64 v[212:213], v[8:9], s[28:29], -v[214:215]
	v_add_f64 v[18:19], v[212:213], v[18:19]
	v_mul_f64 v[212:213], v[12:13], s[30:31]
	v_fma_f64 v[216:217], s[28:29], v[8:9], v[214:215]
	v_fma_f64 v[214:215], v[6:7], s[10:11], -v[212:213]
	v_add_f64 v[24:25], v[214:215], v[24:25]
	v_mul_f64 v[214:215], v[10:11], s[30:31]
	v_fmac_f64_e32 v[212:213], s[10:11], v[6:7]
	v_add_f64 v[22:23], v[212:213], v[22:23]
	v_fma_f64 v[212:213], v[8:9], s[10:11], -v[214:215]
	v_add_f64 v[26:27], v[212:213], v[26:27]
	v_mul_f64 v[212:213], v[12:13], s[14:15]
	v_add_f64 v[20:21], v[216:217], v[20:21]
	v_fma_f64 v[216:217], s[10:11], v[8:9], v[214:215]
	v_fma_f64 v[214:215], v[6:7], s[16:17], -v[212:213]
	v_add_f64 v[36:37], v[214:215], v[36:37]
	v_mul_f64 v[214:215], v[10:11], s[14:15]
	v_fmac_f64_e32 v[212:213], s[16:17], v[6:7]
	v_add_f64 v[28:29], v[212:213], v[28:29]
	v_fma_f64 v[212:213], v[8:9], s[16:17], -v[214:215]
	v_add_f64 v[30:31], v[212:213], v[30:31]
	v_mul_f64 v[212:213], v[12:13], s[46:47]
	v_add_f64 v[32:33], v[216:217], v[32:33]
	;; [unrolled: 10-line block ×3, first 2 shown]
	v_fma_f64 v[216:217], s[36:37], v[8:9], v[214:215]
	v_fma_f64 v[214:215], v[6:7], s[22:23], -v[212:213]
	v_add_f64 v[242:243], v[242:243], v[250:251]
	v_add_f64 v[50:51], v[214:215], v[50:51]
	v_mul_f64 v[214:215], v[10:11], s[42:43]
	v_fmac_f64_e32 v[212:213], s[22:23], v[6:7]
	v_add_f64 v[238:239], v[238:239], v[246:247]
	v_add_f64 v[240:241], v[240:241], v[248:249]
	;; [unrolled: 1-line block ×4, first 2 shown]
	v_fma_f64 v[212:213], v[8:9], s[22:23], -v[214:215]
	v_mul_f64 v[12:13], v[12:13], s[18:19]
	v_add_f64 v[230:231], v[230:231], v[238:239]
	v_add_f64 v[228:229], v[228:229], v[240:241]
	;; [unrolled: 1-line block ×4, first 2 shown]
	v_fma_f64 v[212:213], v[6:7], s[24:25], -v[12:13]
	v_fmac_f64_e32 v[12:13], s[24:25], v[6:7]
	v_add_f64 v[232:233], v[208:209], -v[210:211]
	v_add_f64 v[224:225], v[224:225], v[230:231]
	v_add_f64 v[220:221], v[220:221], v[228:229]
	;; [unrolled: 1-line block ×3, first 2 shown]
	v_fma_f64 v[216:217], s[22:23], v[8:9], v[214:215]
	v_mul_f64 v[10:11], v[10:11], s[18:19]
	v_add_f64 v[2:3], v[12:13], v[2:3]
	v_add_f64 v[230:231], v[204:205], v[206:207]
	v_add_f64 v[236:237], v[204:205], -v[206:207]
	v_mul_f64 v[12:13], v[232:233], s[34:35]
	v_add_f64 v[218:219], v[216:217], v[224:225]
	v_add_f64 v[224:225], v[212:213], v[220:221]
	v_fma_f64 v[212:213], s[24:25], v[8:9], v[10:11]
	v_fma_f64 v[6:7], v[8:9], s[24:25], -v[10:11]
	v_add_f64 v[228:229], v[208:209], v[210:211]
	v_mul_f64 v[10:11], v[236:237], s[34:35]
	v_fma_f64 v[8:9], s[36:37], v[230:231], v[12:13]
	v_add_f64 v[4:5], v[6:7], v[4:5]
	v_fma_f64 v[6:7], v[228:229], s[36:37], -v[10:11]
	v_add_f64 v[8:9], v[8:9], v[20:21]
	v_fma_f64 v[12:13], v[230:231], s[36:37], -v[12:13]
	v_mul_f64 v[20:21], v[232:233], s[42:43]
	v_add_f64 v[6:7], v[6:7], v[16:17]
	v_fmac_f64_e32 v[10:11], s[36:37], v[228:229]
	v_add_f64 v[12:13], v[12:13], v[18:19]
	v_mul_f64 v[18:19], v[236:237], s[42:43]
	v_fma_f64 v[16:17], s[22:23], v[230:231], v[20:21]
	v_fma_f64 v[20:21], v[230:231], s[22:23], -v[20:21]
	v_add_f64 v[10:11], v[10:11], v[14:15]
	v_fma_f64 v[14:15], v[228:229], s[22:23], -v[18:19]
	v_fmac_f64_e32 v[18:19], s[22:23], v[228:229]
	v_add_f64 v[20:21], v[20:21], v[26:27]
	v_mul_f64 v[26:27], v[236:237], s[26:27]
	v_add_f64 v[16:17], v[16:17], v[32:33]
	v_add_f64 v[18:19], v[18:19], v[22:23]
	v_fma_f64 v[22:23], v[228:229], s[28:29], -v[26:27]
	v_mul_f64 v[32:33], v[232:233], s[26:27]
	v_fmac_f64_e32 v[26:27], s[28:29], v[228:229]
	v_add_f64 v[204:205], v[26:27], v[28:29]
	v_fma_f64 v[26:27], v[230:231], s[28:29], -v[32:33]
	v_add_f64 v[206:207], v[26:27], v[30:31]
	v_mul_f64 v[26:27], v[236:237], s[44:45]
	v_fma_f64 v[28:29], v[228:229], s[16:17], -v[26:27]
	v_add_f64 v[208:209], v[28:29], v[44:45]
	v_mul_f64 v[28:29], v[232:233], s[44:45]
	v_fmac_f64_e32 v[26:27], s[16:17], v[228:229]
	v_add_f64 v[226:227], v[212:213], v[222:223]
	v_add_f64 v[212:213], v[26:27], v[34:35]
	v_fma_f64 v[26:27], v[230:231], s[16:17], -v[28:29]
	v_add_f64 v[214:215], v[26:27], v[38:39]
	v_mul_f64 v[26:27], v[236:237], s[18:19]
	v_fma_f64 v[30:31], s[16:17], v[230:231], v[28:29]
	v_fma_f64 v[28:29], v[228:229], s[24:25], -v[26:27]
	v_add_f64 v[216:217], v[28:29], v[50:51]
	v_mul_f64 v[28:29], v[232:233], s[18:19]
	v_fmac_f64_e32 v[26:27], s[24:25], v[228:229]
	v_add_f64 v[220:221], v[26:27], v[42:43]
	v_fma_f64 v[26:27], v[230:231], s[24:25], -v[28:29]
	v_add_f64 v[222:223], v[26:27], v[46:47]
	v_mul_f64 v[26:27], v[236:237], s[30:31]
	v_add_f64 v[210:211], v[30:31], v[48:49]
	v_fma_f64 v[30:31], s[24:25], v[230:231], v[28:29]
	v_fma_f64 v[28:29], v[228:229], s[10:11], -v[26:27]
	v_add_f64 v[224:225], v[28:29], v[224:225]
	v_mul_f64 v[28:29], v[232:233], s[30:31]
	v_fmac_f64_e32 v[26:27], s[10:11], v[228:229]
	v_add_f64 v[228:229], v[26:27], v[2:3]
	v_fma_f64 v[2:3], v[230:231], s[10:11], -v[28:29]
	v_add_f64 v[14:15], v[14:15], v[24:25]
	v_fma_f64 v[24:25], s[28:29], v[230:231], v[32:33]
	v_add_f64 v[218:219], v[30:31], v[218:219]
	v_fma_f64 v[30:31], s[10:11], v[230:231], v[28:29]
	v_add_f64 v[230:231], v[2:3], v[4:5]
	v_add_co_u32_e64 v2, s[2:3], s2, v0
	v_add_f64 v[22:23], v[22:23], v[36:37]
	s_nop 0
	v_addc_co_u32_e64 v3, s[2:3], 0, v1, s[2:3]
	v_add_f64 v[24:25], v[24:25], v[40:41]
	v_add_f64 v[226:227], v[30:31], v[226:227]
	ds_write_b128 v252, v[200:203]
	ds_write_b128 v252, v[6:9] offset:2496
	ds_write_b128 v252, v[14:17] offset:4992
	;; [unrolled: 1-line block ×12, first 2 shown]
	s_waitcnt lgkmcnt(0)
	s_barrier
	global_load_dwordx4 v[200:203], v[2:3], off offset:3776
	s_mov_b64 s[2:3], 0x7ec0
	v_lshl_add_u64 v[2:3], v[0:1], 0, s[2:3]
	global_load_dwordx4 v[204:207], v[2:3], off offset:2496
	s_mov_b32 s2, 0x9000
	v_add_co_u32_e64 v2, s[2:3], s2, v0
	s_nop 1
	v_addc_co_u32_e64 v3, s[2:3], 0, v1, s[2:3]
	global_load_dwordx4 v[208:211], v[2:3], off offset:576
	global_load_dwordx4 v[212:215], v[2:3], off offset:3072
	s_mov_b32 s2, 0xa000
	v_add_co_u32_e64 v2, s[2:3], s2, v0
	s_nop 1
	v_addc_co_u32_e64 v3, s[2:3], 0, v1, s[2:3]
	global_load_dwordx4 v[216:219], v[2:3], off offset:1472
	;; [unrolled: 6-line block ×3, first 2 shown]
	s_mov_b32 s2, 0xc000
	v_add_co_u32_e64 v2, s[2:3], s2, v0
	s_nop 1
	v_addc_co_u32_e64 v3, s[2:3], 0, v1, s[2:3]
	global_load_dwordx4 v[10:13], v[2:3], off offset:768
	global_load_dwordx4 v[14:17], v[2:3], off offset:3264
	s_mov_b32 s2, 0xd000
	v_add_co_u32_e64 v2, s[2:3], s2, v0
	s_nop 1
	v_addc_co_u32_e64 v3, s[2:3], 0, v1, s[2:3]
	global_load_dwordx4 v[18:21], v[2:3], off offset:1664
	s_mov_b32 s2, 0xe000
	v_add_co_u32_e64 v2, s[2:3], s2, v0
	s_nop 1
	v_addc_co_u32_e64 v3, s[2:3], 0, v1, s[2:3]
	global_load_dwordx4 v[22:25], v[2:3], off offset:64
	global_load_dwordx4 v[224:227], v[2:3], off offset:2560
	s_mov_b32 s2, 0xf000
	v_add_co_u32_e64 v0, s[2:3], s2, v0
	s_nop 1
	v_addc_co_u32_e64 v1, s[2:3], 0, v1, s[2:3]
	global_load_dwordx4 v[228:231], v[0:1], off offset:960
	ds_read_b128 v[236:239], v252
	ds_read_b128 v[240:243], v252 offset:2496
	s_waitcnt vmcnt(12) lgkmcnt(1)
	v_mul_f64 v[0:1], v[238:239], v[202:203]
	v_mul_f64 v[246:247], v[236:237], v[202:203]
	v_fma_f64 v[244:245], v[236:237], v[200:201], -v[0:1]
	v_fmac_f64_e32 v[246:247], v[238:239], v[200:201]
	ds_read_b128 v[236:239], v252 offset:4992
	s_waitcnt vmcnt(11) lgkmcnt(1)
	v_mul_f64 v[0:1], v[242:243], v[206:207]
	v_mul_f64 v[202:203], v[240:241], v[206:207]
	v_fma_f64 v[200:201], v[240:241], v[204:205], -v[0:1]
	v_fmac_f64_e32 v[202:203], v[242:243], v[204:205]
	ds_write_b128 v252, v[200:203] offset:2496
	ds_read_b128 v[200:203], v252 offset:7488
	s_waitcnt vmcnt(10) lgkmcnt(2)
	v_mul_f64 v[0:1], v[238:239], v[210:211]
	v_mul_f64 v[206:207], v[236:237], v[210:211]
	v_fma_f64 v[204:205], v[236:237], v[208:209], -v[0:1]
	v_fmac_f64_e32 v[206:207], v[238:239], v[208:209]
	ds_read_b128 v[208:211], v252 offset:9984
	ds_write_b128 v252, v[204:207] offset:4992
	s_waitcnt vmcnt(9) lgkmcnt(2)
	v_mul_f64 v[0:1], v[202:203], v[214:215]
	v_mul_f64 v[206:207], v[200:201], v[214:215]
	v_fma_f64 v[204:205], v[200:201], v[212:213], -v[0:1]
	v_fmac_f64_e32 v[206:207], v[202:203], v[212:213]
	ds_read_b128 v[200:203], v252 offset:12480
	ds_write_b128 v252, v[204:207] offset:7488
	;; [unrolled: 7-line block ×4, first 2 shown]
	s_waitcnt vmcnt(6) lgkmcnt(3)
	v_mul_f64 v[0:1], v[210:211], v[8:9]
	v_mul_f64 v[206:207], v[208:209], v[8:9]
	v_fma_f64 v[204:205], v[208:209], v[6:7], -v[0:1]
	v_fmac_f64_e32 v[206:207], v[210:211], v[6:7]
	ds_write_b128 v252, v[204:207] offset:14976
	ds_read_b128 v[204:207], v252 offset:19968
	s_waitcnt vmcnt(5) lgkmcnt(3)
	v_mul_f64 v[0:1], v[202:203], v[12:13]
	v_mul_f64 v[8:9], v[200:201], v[12:13]
	v_fma_f64 v[6:7], v[200:201], v[10:11], -v[0:1]
	v_fmac_f64_e32 v[8:9], v[202:203], v[10:11]
	ds_write_b128 v252, v[6:9] offset:17472
	ds_read_b128 v[6:9], v252 offset:22464
	s_waitcnt vmcnt(4) lgkmcnt(2)
	v_mul_f64 v[0:1], v[206:207], v[16:17]
	v_mul_f64 v[12:13], v[204:205], v[16:17]
	v_fma_f64 v[10:11], v[204:205], v[14:15], -v[0:1]
	v_fmac_f64_e32 v[12:13], v[206:207], v[14:15]
	ds_read_b128 v[14:17], v252 offset:24960
	ds_write_b128 v252, v[10:13] offset:19968
	s_waitcnt vmcnt(3) lgkmcnt(2)
	v_mul_f64 v[0:1], v[8:9], v[20:21]
	v_mul_f64 v[12:13], v[6:7], v[20:21]
	v_fma_f64 v[10:11], v[6:7], v[18:19], -v[0:1]
	v_fmac_f64_e32 v[12:13], v[8:9], v[18:19]
	ds_read_b128 v[6:9], v252 offset:27456
	ds_write_b128 v252, v[10:13] offset:22464
	s_waitcnt vmcnt(2) lgkmcnt(3)
	v_mul_f64 v[0:1], v[16:17], v[24:25]
	v_mul_f64 v[12:13], v[14:15], v[24:25]
	v_fma_f64 v[10:11], v[14:15], v[22:23], -v[0:1]
	v_fmac_f64_e32 v[12:13], v[16:17], v[22:23]
	ds_write_b128 v252, v[10:13] offset:24960
	ds_read_b128 v[10:13], v252 offset:29952
	s_waitcnt vmcnt(1) lgkmcnt(3)
	v_mul_f64 v[0:1], v[8:9], v[226:227]
	v_mul_f64 v[16:17], v[6:7], v[226:227]
	v_fma_f64 v[14:15], v[6:7], v[224:225], -v[0:1]
	v_fmac_f64_e32 v[16:17], v[8:9], v[224:225]
	s_waitcnt vmcnt(0) lgkmcnt(0)
	v_mul_f64 v[0:1], v[12:13], v[230:231]
	v_mul_f64 v[8:9], v[10:11], v[230:231]
	v_fma_f64 v[6:7], v[10:11], v[228:229], -v[0:1]
	v_fmac_f64_e32 v[8:9], v[12:13], v[228:229]
	ds_write_b128 v252, v[244:247]
	ds_write_b128 v252, v[14:17] offset:27456
	ds_write_b128 v252, v[6:9] offset:29952
	s_waitcnt lgkmcnt(0)
	s_barrier
	ds_read_b128 v[6:9], v252
	ds_read_b128 v[10:13], v252 offset:2496
	ds_read_b128 v[14:17], v252 offset:4992
	;; [unrolled: 1-line block ×12, first 2 shown]
	s_waitcnt lgkmcnt(11)
	v_add_f64 v[0:1], v[6:7], v[10:11]
	v_add_f64 v[2:3], v[8:9], v[12:13]
	s_waitcnt lgkmcnt(10)
	v_add_f64 v[0:1], v[0:1], v[14:15]
	v_add_f64 v[2:3], v[2:3], v[16:17]
	;; [unrolled: 3-line block ×12, first 2 shown]
	v_add_f64 v[4:5], v[10:11], -v[236:237]
	v_add_f64 v[10:11], v[12:13], -v[238:239]
	v_add_f64 v[206:207], v[2:3], v[238:239]
	v_add_f64 v[2:3], v[12:13], v[238:239]
	v_mul_f64 v[12:13], v[10:11], s[20:21]
	v_mul_f64 v[32:33], v[10:11], s[14:15]
	;; [unrolled: 1-line block ×6, first 2 shown]
	v_fma_f64 v[26:27], s[22:23], v[0:1], v[12:13]
	v_mul_f64 v[28:29], v[2:3], s[22:23]
	v_fma_f64 v[12:13], v[0:1], s[22:23], -v[12:13]
	v_fma_f64 v[34:35], s[16:17], v[0:1], v[32:33]
	v_mul_f64 v[36:37], v[2:3], s[16:17]
	v_fma_f64 v[32:33], v[0:1], s[16:17], -v[32:33]
	;; [unrolled: 3-line block ×6, first 2 shown]
	v_add_f64 v[26:27], v[6:7], v[26:27]
	v_fma_f64 v[30:31], s[42:43], v[4:5], v[28:29]
	v_add_f64 v[12:13], v[6:7], v[12:13]
	v_fmac_f64_e32 v[28:29], s[20:21], v[4:5]
	v_add_f64 v[34:35], v[6:7], v[34:35]
	v_fma_f64 v[38:39], s[44:45], v[4:5], v[36:37]
	v_add_f64 v[32:33], v[6:7], v[32:33]
	v_fmac_f64_e32 v[36:37], s[14:15], v[4:5]
	;; [unrolled: 4-line block ×6, first 2 shown]
	v_add_f64 v[6:7], v[16:17], v[24:25]
	v_add_f64 v[10:11], v[16:17], -v[24:25]
	v_add_f64 v[30:31], v[8:9], v[30:31]
	v_add_f64 v[28:29], v[8:9], v[28:29]
	;; [unrolled: 1-line block ×13, first 2 shown]
	v_add_f64 v[8:9], v[14:15], -v[22:23]
	v_mul_f64 v[14:15], v[10:11], s[14:15]
	v_mul_f64 v[22:23], v[6:7], s[16:17]
	v_fma_f64 v[16:17], s[16:17], v[4:5], v[14:15]
	v_fma_f64 v[24:25], s[44:45], v[8:9], v[22:23]
	v_fma_f64 v[14:15], v[4:5], s[16:17], -v[14:15]
	v_fmac_f64_e32 v[22:23], s[14:15], v[8:9]
	v_add_f64 v[12:13], v[14:15], v[12:13]
	v_add_f64 v[14:15], v[22:23], v[28:29]
	v_mul_f64 v[22:23], v[10:11], s[18:19]
	v_add_f64 v[16:17], v[16:17], v[26:27]
	v_fma_f64 v[26:27], s[24:25], v[4:5], v[22:23]
	v_fma_f64 v[22:23], v[4:5], s[24:25], -v[22:23]
	v_mul_f64 v[28:29], v[6:7], s[24:25]
	v_add_f64 v[22:23], v[22:23], v[32:33]
	v_mul_f64 v[32:33], v[10:11], s[34:35]
	v_add_f64 v[24:25], v[24:25], v[30:31]
	v_add_f64 v[26:27], v[26:27], v[34:35]
	v_fma_f64 v[30:31], s[40:41], v[8:9], v[28:29]
	v_fmac_f64_e32 v[28:29], s[18:19], v[8:9]
	v_fma_f64 v[34:35], s[36:37], v[4:5], v[32:33]
	v_fma_f64 v[32:33], v[4:5], s[36:37], -v[32:33]
	v_add_f64 v[28:29], v[28:29], v[36:37]
	v_mul_f64 v[36:37], v[6:7], s[36:37]
	v_add_f64 v[32:33], v[32:33], v[40:41]
	v_mul_f64 v[40:41], v[10:11], s[38:39]
	v_add_f64 v[30:31], v[30:31], v[38:39]
	v_add_f64 v[34:35], v[34:35], v[42:43]
	v_fma_f64 v[38:39], s[46:47], v[8:9], v[36:37]
	v_fmac_f64_e32 v[36:37], s[34:35], v[8:9]
	v_fma_f64 v[42:43], s[28:29], v[4:5], v[40:41]
	v_fma_f64 v[40:41], v[4:5], s[28:29], -v[40:41]
	v_add_f64 v[36:37], v[36:37], v[44:45]
	v_mul_f64 v[44:45], v[6:7], s[28:29]
	v_add_f64 v[40:41], v[40:41], v[48:49]
	v_mul_f64 v[48:49], v[10:11], s[30:31]
	v_add_f64 v[38:39], v[38:39], v[46:47]
	v_add_f64 v[42:43], v[42:43], v[50:51]
	v_fma_f64 v[46:47], s[26:27], v[8:9], v[44:45]
	v_fmac_f64_e32 v[44:45], s[38:39], v[8:9]
	v_fma_f64 v[50:51], s[10:11], v[4:5], v[48:49]
	v_fma_f64 v[48:49], v[4:5], s[10:11], -v[48:49]
	v_mul_f64 v[10:11], v[10:11], s[42:43]
	v_add_f64 v[44:45], v[44:45], v[232:233]
	v_mul_f64 v[232:233], v[6:7], s[10:11]
	v_add_f64 v[48:49], v[48:49], v[238:239]
	v_fma_f64 v[238:239], s[22:23], v[4:5], v[10:11]
	v_mul_f64 v[6:7], v[6:7], s[22:23]
	v_fma_f64 v[4:5], v[4:5], s[22:23], -v[10:11]
	v_add_f64 v[10:11], v[230:231], -v[20:21]
	v_add_f64 v[46:47], v[46:47], v[236:237]
	v_add_f64 v[50:51], v[50:51], v[240:241]
	v_fma_f64 v[236:237], s[8:9], v[8:9], v[232:233]
	v_fmac_f64_e32 v[232:233], s[30:31], v[8:9]
	v_fma_f64 v[240:241], s[20:21], v[8:9], v[6:7]
	v_add_f64 v[0:1], v[4:5], v[0:1]
	v_fmac_f64_e32 v[6:7], s[42:43], v[8:9]
	v_add_f64 v[4:5], v[228:229], v[18:19]
	v_add_f64 v[8:9], v[228:229], -v[18:19]
	v_mul_f64 v[18:19], v[10:11], s[8:9]
	v_add_f64 v[2:3], v[6:7], v[2:3]
	v_add_f64 v[6:7], v[230:231], v[20:21]
	v_fma_f64 v[20:21], s[10:11], v[4:5], v[18:19]
	v_add_f64 v[16:17], v[20:21], v[16:17]
	v_mul_f64 v[20:21], v[6:7], s[10:11]
	v_fma_f64 v[18:19], v[4:5], s[10:11], -v[18:19]
	v_fma_f64 v[228:229], s[30:31], v[8:9], v[20:21]
	v_add_f64 v[12:13], v[18:19], v[12:13]
	v_fmac_f64_e32 v[20:21], s[8:9], v[8:9]
	v_mul_f64 v[18:19], v[10:11], s[34:35]
	v_add_f64 v[14:15], v[20:21], v[14:15]
	v_fma_f64 v[20:21], s[36:37], v[4:5], v[18:19]
	v_add_f64 v[20:21], v[20:21], v[26:27]
	v_mul_f64 v[26:27], v[6:7], s[36:37]
	v_add_f64 v[24:25], v[228:229], v[24:25]
	v_fma_f64 v[228:229], s[46:47], v[8:9], v[26:27]
	v_fma_f64 v[18:19], v[4:5], s[36:37], -v[18:19]
	v_fmac_f64_e32 v[26:27], s[34:35], v[8:9]
	v_add_f64 v[18:19], v[18:19], v[22:23]
	v_add_f64 v[22:23], v[26:27], v[28:29]
	v_mul_f64 v[26:27], v[10:11], s[40:41]
	v_fma_f64 v[28:29], s[24:25], v[4:5], v[26:27]
	v_add_f64 v[28:29], v[28:29], v[34:35]
	v_mul_f64 v[34:35], v[6:7], s[24:25]
	v_add_f64 v[30:31], v[228:229], v[30:31]
	v_fma_f64 v[228:229], s[18:19], v[8:9], v[34:35]
	v_fma_f64 v[26:27], v[4:5], s[24:25], -v[26:27]
	v_fmac_f64_e32 v[34:35], s[40:41], v[8:9]
	v_add_f64 v[26:27], v[26:27], v[32:33]
	v_add_f64 v[32:33], v[34:35], v[36:37]
	v_mul_f64 v[34:35], v[10:11], s[42:43]
	;; [unrolled: 10-line block ×3, first 2 shown]
	v_fma_f64 v[44:45], s[16:17], v[4:5], v[42:43]
	v_add_f64 v[44:45], v[44:45], v[50:51]
	v_mul_f64 v[50:51], v[6:7], s[16:17]
	v_add_f64 v[232:233], v[232:233], v[242:243]
	v_add_f64 v[46:47], v[228:229], v[46:47]
	v_fma_f64 v[228:229], s[44:45], v[8:9], v[50:51]
	v_fma_f64 v[42:43], v[4:5], s[16:17], -v[42:43]
	v_fmac_f64_e32 v[50:51], s[14:15], v[8:9]
	v_mul_f64 v[10:11], v[10:11], s[26:27]
	v_add_f64 v[42:43], v[42:43], v[48:49]
	v_add_f64 v[48:49], v[50:51], v[232:233]
	v_fma_f64 v[50:51], s[28:29], v[4:5], v[10:11]
	v_mul_f64 v[6:7], v[6:7], s[28:29]
	v_fma_f64 v[4:5], v[4:5], s[28:29], -v[10:11]
	v_add_f64 v[10:11], v[222:223], -v[226:227]
	v_fma_f64 v[230:231], s[38:39], v[8:9], v[6:7]
	v_add_f64 v[0:1], v[4:5], v[0:1]
	v_fmac_f64_e32 v[6:7], s[26:27], v[8:9]
	v_add_f64 v[4:5], v[220:221], v[224:225]
	v_add_f64 v[8:9], v[220:221], -v[224:225]
	v_mul_f64 v[220:221], v[10:11], s[18:19]
	v_add_f64 v[2:3], v[6:7], v[2:3]
	v_add_f64 v[6:7], v[222:223], v[226:227]
	v_fma_f64 v[222:223], s[24:25], v[4:5], v[220:221]
	v_add_f64 v[16:17], v[222:223], v[16:17]
	v_mul_f64 v[222:223], v[6:7], s[24:25]
	v_fma_f64 v[220:221], v[4:5], s[24:25], -v[220:221]
	v_fma_f64 v[224:225], s[40:41], v[8:9], v[222:223]
	v_add_f64 v[12:13], v[220:221], v[12:13]
	v_fmac_f64_e32 v[222:223], s[18:19], v[8:9]
	v_mul_f64 v[220:221], v[10:11], s[38:39]
	v_add_f64 v[14:15], v[222:223], v[14:15]
	v_fma_f64 v[222:223], s[28:29], v[4:5], v[220:221]
	v_add_f64 v[20:21], v[222:223], v[20:21]
	v_mul_f64 v[222:223], v[6:7], s[28:29]
	v_fma_f64 v[220:221], v[4:5], s[28:29], -v[220:221]
	v_add_f64 v[24:25], v[224:225], v[24:25]
	v_fma_f64 v[224:225], s[26:27], v[8:9], v[222:223]
	v_add_f64 v[18:19], v[220:221], v[18:19]
	v_fmac_f64_e32 v[222:223], s[38:39], v[8:9]
	v_mul_f64 v[220:221], v[10:11], s[42:43]
	v_add_f64 v[22:23], v[222:223], v[22:23]
	v_fma_f64 v[222:223], s[22:23], v[4:5], v[220:221]
	v_add_f64 v[28:29], v[222:223], v[28:29]
	v_mul_f64 v[222:223], v[6:7], s[22:23]
	v_fma_f64 v[220:221], v[4:5], s[22:23], -v[220:221]
	v_add_f64 v[30:31], v[224:225], v[30:31]
	;; [unrolled: 10-line block ×3, first 2 shown]
	v_fma_f64 v[224:225], s[30:31], v[8:9], v[222:223]
	v_add_f64 v[34:35], v[220:221], v[34:35]
	v_fmac_f64_e32 v[222:223], s[8:9], v[8:9]
	v_mul_f64 v[220:221], v[10:11], s[46:47]
	v_add_f64 v[238:239], v[238:239], v[246:247]
	v_add_f64 v[40:41], v[222:223], v[40:41]
	v_fma_f64 v[222:223], s[36:37], v[4:5], v[220:221]
	v_fma_f64 v[220:221], v[4:5], s[36:37], -v[220:221]
	v_mul_f64 v[10:11], v[10:11], s[44:45]
	v_add_f64 v[50:51], v[50:51], v[238:239]
	v_add_f64 v[44:45], v[222:223], v[44:45]
	v_mul_f64 v[222:223], v[6:7], s[36:37]
	v_add_f64 v[42:43], v[220:221], v[42:43]
	v_fma_f64 v[220:221], s[16:17], v[4:5], v[10:11]
	v_mul_f64 v[6:7], v[6:7], s[16:17]
	v_fma_f64 v[4:5], v[4:5], s[16:17], -v[10:11]
	v_add_f64 v[10:11], v[214:215], -v[218:219]
	v_add_f64 v[46:47], v[224:225], v[46:47]
	v_fma_f64 v[224:225], s[34:35], v[8:9], v[222:223]
	v_fmac_f64_e32 v[222:223], s[46:47], v[8:9]
	v_add_f64 v[50:51], v[220:221], v[50:51]
	v_fma_f64 v[220:221], s[14:15], v[8:9], v[6:7]
	v_add_f64 v[0:1], v[4:5], v[0:1]
	v_fmac_f64_e32 v[6:7], s[44:45], v[8:9]
	v_add_f64 v[4:5], v[212:213], v[216:217]
	v_add_f64 v[8:9], v[212:213], -v[216:217]
	v_mul_f64 v[212:213], v[10:11], s[26:27]
	v_add_f64 v[2:3], v[6:7], v[2:3]
	v_add_f64 v[6:7], v[214:215], v[218:219]
	v_fma_f64 v[214:215], s[28:29], v[4:5], v[212:213]
	v_add_f64 v[16:17], v[214:215], v[16:17]
	v_mul_f64 v[214:215], v[6:7], s[28:29]
	v_fma_f64 v[212:213], v[4:5], s[28:29], -v[212:213]
	v_fma_f64 v[216:217], s[38:39], v[8:9], v[214:215]
	v_add_f64 v[12:13], v[212:213], v[12:13]
	v_fmac_f64_e32 v[214:215], s[26:27], v[8:9]
	v_mul_f64 v[212:213], v[10:11], s[30:31]
	v_add_f64 v[14:15], v[214:215], v[14:15]
	v_fma_f64 v[214:215], s[10:11], v[4:5], v[212:213]
	v_add_f64 v[20:21], v[214:215], v[20:21]
	v_mul_f64 v[214:215], v[6:7], s[10:11]
	v_fma_f64 v[212:213], v[4:5], s[10:11], -v[212:213]
	v_add_f64 v[24:25], v[216:217], v[24:25]
	v_fma_f64 v[216:217], s[8:9], v[8:9], v[214:215]
	v_add_f64 v[18:19], v[212:213], v[18:19]
	v_fmac_f64_e32 v[214:215], s[30:31], v[8:9]
	v_mul_f64 v[212:213], v[10:11], s[14:15]
	v_add_f64 v[22:23], v[214:215], v[22:23]
	v_fma_f64 v[214:215], s[16:17], v[4:5], v[212:213]
	v_add_f64 v[28:29], v[214:215], v[28:29]
	v_mul_f64 v[214:215], v[6:7], s[16:17]
	v_fma_f64 v[212:213], v[4:5], s[16:17], -v[212:213]
	v_add_f64 v[30:31], v[216:217], v[30:31]
	;; [unrolled: 10-line block ×3, first 2 shown]
	v_fma_f64 v[216:217], s[34:35], v[8:9], v[214:215]
	v_add_f64 v[34:35], v[212:213], v[34:35]
	v_fmac_f64_e32 v[214:215], s[46:47], v[8:9]
	v_mul_f64 v[212:213], v[10:11], s[42:43]
	v_add_f64 v[236:237], v[236:237], v[244:245]
	v_add_f64 v[40:41], v[214:215], v[40:41]
	v_fma_f64 v[214:215], s[22:23], v[4:5], v[212:213]
	v_add_f64 v[228:229], v[228:229], v[236:237]
	v_add_f64 v[44:45], v[214:215], v[44:45]
	v_mul_f64 v[214:215], v[6:7], s[22:23]
	v_add_f64 v[224:225], v[224:225], v[228:229]
	v_add_f64 v[46:47], v[216:217], v[46:47]
	v_fma_f64 v[216:217], s[20:21], v[8:9], v[214:215]
	v_fma_f64 v[212:213], v[4:5], s[22:23], -v[212:213]
	v_mul_f64 v[10:11], v[10:11], s[18:19]
	v_add_f64 v[218:219], v[216:217], v[224:225]
	v_add_f64 v[42:43], v[212:213], v[42:43]
	v_fma_f64 v[212:213], s[24:25], v[4:5], v[10:11]
	v_mul_f64 v[6:7], v[6:7], s[24:25]
	v_fma_f64 v[4:5], v[4:5], s[24:25], -v[10:11]
	v_add_f64 v[224:225], v[202:203], -v[210:211]
	v_add_f64 v[240:241], v[240:241], v[248:249]
	v_add_f64 v[50:51], v[212:213], v[50:51]
	v_fma_f64 v[212:213], s[40:41], v[8:9], v[6:7]
	v_add_f64 v[0:1], v[4:5], v[0:1]
	v_fmac_f64_e32 v[6:7], s[18:19], v[8:9]
	v_add_f64 v[4:5], v[200:201], v[208:209]
	v_mul_f64 v[10:11], v[224:225], s[34:35]
	v_add_f64 v[230:231], v[230:231], v[240:241]
	v_add_f64 v[2:3], v[6:7], v[2:3]
	;; [unrolled: 1-line block ×3, first 2 shown]
	v_fma_f64 v[6:7], s[36:37], v[4:5], v[10:11]
	v_add_f64 v[220:221], v[220:221], v[230:231]
	v_add_f64 v[230:231], v[200:201], -v[208:209]
	v_add_f64 v[6:7], v[6:7], v[16:17]
	v_mul_f64 v[16:17], v[228:229], s[36:37]
	v_fmac_f64_e32 v[214:215], s[42:43], v[8:9]
	v_fma_f64 v[8:9], s[46:47], v[230:231], v[16:17]
	v_fmac_f64_e32 v[16:17], s[34:35], v[230:231]
	v_fma_f64 v[10:11], v[4:5], s[36:37], -v[10:11]
	v_add_f64 v[202:203], v[16:17], v[14:15]
	v_mul_f64 v[16:17], v[228:229], s[22:23]
	v_add_f64 v[200:201], v[10:11], v[12:13]
	v_mul_f64 v[14:15], v[224:225], s[42:43]
	v_fma_f64 v[12:13], s[20:21], v[230:231], v[16:17]
	v_fmac_f64_e32 v[16:17], s[42:43], v[230:231]
	v_fma_f64 v[10:11], s[22:23], v[4:5], v[14:15]
	v_fma_f64 v[14:15], v[4:5], s[22:23], -v[14:15]
	v_add_f64 v[16:17], v[16:17], v[22:23]
	v_mul_f64 v[22:23], v[224:225], s[26:27]
	v_add_f64 v[14:15], v[14:15], v[18:19]
	v_fma_f64 v[18:19], s[28:29], v[4:5], v[22:23]
	v_fma_f64 v[22:23], v[4:5], s[28:29], -v[22:23]
	v_add_f64 v[22:23], v[22:23], v[26:27]
	v_mul_f64 v[26:27], v[224:225], s[44:45]
	v_add_f64 v[18:19], v[18:19], v[28:29]
	v_fma_f64 v[28:29], s[16:17], v[4:5], v[26:27]
	v_add_f64 v[208:209], v[28:29], v[36:37]
	v_mul_f64 v[28:29], v[228:229], s[16:17]
	v_fma_f64 v[26:27], v[4:5], s[16:17], -v[26:27]
	v_add_f64 v[48:49], v[222:223], v[48:49]
	v_add_f64 v[226:227], v[212:213], v[220:221]
	;; [unrolled: 1-line block ×3, first 2 shown]
	v_fma_f64 v[30:31], s[14:15], v[230:231], v[28:29]
	v_add_f64 v[212:213], v[26:27], v[34:35]
	v_fmac_f64_e32 v[28:29], s[44:45], v[230:231]
	v_mul_f64 v[26:27], v[224:225], s[18:19]
	v_add_f64 v[48:49], v[214:215], v[48:49]
	v_add_f64 v[214:215], v[28:29], v[40:41]
	v_fma_f64 v[28:29], s[24:25], v[4:5], v[26:27]
	v_add_f64 v[216:217], v[28:29], v[44:45]
	v_mul_f64 v[28:29], v[228:229], s[24:25]
	v_fma_f64 v[26:27], v[4:5], s[24:25], -v[26:27]
	v_add_f64 v[210:211], v[30:31], v[46:47]
	v_fma_f64 v[30:31], s[40:41], v[230:231], v[28:29]
	v_add_f64 v[220:221], v[26:27], v[42:43]
	v_fmac_f64_e32 v[28:29], s[18:19], v[230:231]
	v_mul_f64 v[26:27], v[224:225], s[30:31]
	v_add_f64 v[222:223], v[28:29], v[48:49]
	v_fma_f64 v[28:29], s[10:11], v[4:5], v[26:27]
	v_add_f64 v[224:225], v[28:29], v[50:51]
	v_mul_f64 v[28:29], v[228:229], s[10:11]
	v_add_f64 v[8:9], v[8:9], v[24:25]
	v_mul_f64 v[24:25], v[228:229], s[28:29]
	v_add_f64 v[218:219], v[30:31], v[218:219]
	v_fma_f64 v[30:31], s[8:9], v[230:231], v[28:29]
	v_fma_f64 v[4:5], v[4:5], s[10:11], -v[26:27]
	v_fmac_f64_e32 v[28:29], s[30:31], v[230:231]
	v_add_f64 v[10:11], v[10:11], v[20:21]
	v_fma_f64 v[20:21], s[38:39], v[230:231], v[24:25]
	v_fmac_f64_e32 v[24:25], s[26:27], v[230:231]
	v_add_f64 v[226:227], v[30:31], v[226:227]
	v_add_f64 v[228:229], v[4:5], v[0:1]
	;; [unrolled: 1-line block ×5, first 2 shown]
	s_barrier
	ds_write_b128 v234, v[204:207]
	ds_write_b128 v234, v[6:9] offset:16
	ds_write_b128 v234, v[10:13] offset:32
	;; [unrolled: 1-line block ×12, first 2 shown]
	s_waitcnt lgkmcnt(0)
	s_barrier
	ds_read_b128 v[212:215], v252
	ds_read_b128 v[208:211], v252 offset:2496
	ds_read_b128 v[240:243], v252 offset:16224
	;; [unrolled: 1-line block ×11, first 2 shown]
	s_and_saveexec_b64 s[2:3], vcc
	s_cbranch_execz .LBB0_11
; %bb.10:
	ds_read_b128 v[200:203], v252 offset:7488
	ds_read_b128 v[192:195], v252 offset:15600
	;; [unrolled: 1-line block ×4, first 2 shown]
.LBB0_11:
	s_or_b64 exec, exec, s[2:3]
	s_waitcnt lgkmcnt(5)
	v_mul_f64 v[12:13], v[74:75], v[236:237]
	v_fma_f64 v[24:25], v[72:73], v[238:239], -v[12:13]
	v_mul_f64 v[12:13], v[70:71], v[228:229]
	v_fma_f64 v[28:29], v[68:69], v[230:231], -v[12:13]
	s_waitcnt lgkmcnt(1)
	v_mul_f64 v[12:13], v[66:67], v[232:233]
	v_fma_f64 v[32:33], v[64:65], v[234:235], -v[12:13]
	v_mul_f64 v[12:13], v[86:87], v[224:225]
	v_fma_f64 v[36:37], v[84:85], v[226:227], -v[12:13]
	;; [unrolled: 2-line block ×3, first 2 shown]
	s_waitcnt lgkmcnt(0)
	v_mul_f64 v[12:13], v[78:79], v[216:217]
	v_mul_f64 v[0:1], v[58:59], v[250:251]
	;; [unrolled: 1-line block ×7, first 2 shown]
	v_fma_f64 v[44:45], v[76:77], v[218:219], -v[12:13]
	v_mul_f64 v[12:13], v[106:107], v[192:193]
	v_fmac_f64_e32 v[0:1], v[56:57], v[248:249]
	v_fma_f64 v[2:3], v[56:57], v[250:251], -v[2:3]
	v_fmac_f64_e32 v[4:5], v[52:53], v[240:241]
	v_fma_f64 v[6:7], v[52:53], v[242:243], -v[6:7]
	;; [unrolled: 2-line block ×3, first 2 shown]
	v_fma_f64 v[48:49], v[104:105], v[194:195], -v[12:13]
	v_mul_f64 v[12:13], v[102:103], v[196:197]
	v_mul_f64 v[22:23], v[74:75], v[238:239]
	;; [unrolled: 1-line block ×4, first 2 shown]
	v_fma_f64 v[52:53], v[100:101], v[198:199], -v[12:13]
	v_mul_f64 v[12:13], v[98:99], v[140:141]
	v_add_f64 v[4:5], v[212:213], -v[4:5]
	v_add_f64 v[20:21], v[214:215], -v[6:7]
	;; [unrolled: 1-line block ×4, first 2 shown]
	v_fmac_f64_e32 v[22:23], v[72:73], v[236:237]
	v_fmac_f64_e32 v[26:27], v[68:69], v[228:229]
	;; [unrolled: 1-line block ×3, first 2 shown]
	v_fma_f64 v[56:57], v[96:97], v[142:143], -v[12:13]
	v_fma_f64 v[12:13], v[212:213], 2.0, -v[4:5]
	v_fma_f64 v[14:15], v[214:215], 2.0, -v[20:21]
	;; [unrolled: 1-line block ×4, first 2 shown]
	v_mul_f64 v[38:39], v[82:83], v[222:223]
	v_add_f64 v[6:7], v[12:13], -v[0:1]
	v_add_f64 v[8:9], v[14:15], -v[2:3]
	;; [unrolled: 1-line block ×6, first 2 shown]
	v_mul_f64 v[34:35], v[86:87], v[226:227]
	v_fmac_f64_e32 v[38:39], v[80:81], v[220:221]
	v_mul_f64 v[42:43], v[78:79], v[218:219]
	v_fma_f64 v[10:11], v[12:13], 2.0, -v[6:7]
	v_fma_f64 v[12:13], v[14:15], 2.0, -v[8:9]
	v_add_f64 v[14:15], v[4:5], v[18:19]
	v_add_f64 v[72:73], v[0:1], v[30:31]
	v_fmac_f64_e32 v[34:35], v[84:85], v[224:225]
	v_fmac_f64_e32 v[42:43], v[76:77], v[216:217]
	v_mul_f64 v[50:51], v[102:103], v[198:199]
	v_mul_f64 v[54:55], v[98:99], v[142:143]
	v_fma_f64 v[18:19], v[4:5], 2.0, -v[14:15]
	v_fma_f64 v[4:5], v[208:209], 2.0, -v[0:1]
	;; [unrolled: 1-line block ×5, first 2 shown]
	v_add_f64 v[74:75], v[2:3], -v[28:29]
	v_fma_f64 v[76:77], v[0:1], 2.0, -v[72:73]
	v_add_f64 v[0:1], v[204:205], -v[38:39]
	v_add_f64 v[30:31], v[36:37], -v[44:45]
	v_mul_f64 v[46:47], v[106:107], v[194:195]
	v_fmac_f64_e32 v[50:51], v[100:101], v[196:197]
	v_fmac_f64_e32 v[54:55], v[96:97], v[140:141]
	v_add_f64 v[22:23], v[4:5], -v[22:23]
	v_add_f64 v[24:25], v[26:27], -v[24:25]
	v_fma_f64 v[78:79], v[2:3], 2.0, -v[74:75]
	v_add_f64 v[2:3], v[206:207], -v[40:41]
	v_add_f64 v[28:29], v[34:35], -v[42:43]
	v_add_f64 v[96:97], v[0:1], v[30:31]
	v_fmac_f64_e32 v[46:47], v[104:105], v[192:193]
	v_fma_f64 v[68:69], v[4:5], 2.0, -v[22:23]
	v_fma_f64 v[70:71], v[26:27], 2.0, -v[24:25]
	;; [unrolled: 1-line block ×6, first 2 shown]
	v_add_f64 v[98:99], v[2:3], -v[28:29]
	v_fma_f64 v[100:101], v[0:1], 2.0, -v[96:97]
	v_add_f64 v[0:1], v[200:201], -v[50:51]
	v_add_f64 v[30:31], v[48:49], -v[56:57]
	;; [unrolled: 1-line block ×4, first 2 shown]
	v_fma_f64 v[102:103], v[2:3], 2.0, -v[98:99]
	v_add_f64 v[2:3], v[202:203], -v[52:53]
	v_add_f64 v[28:29], v[46:47], -v[54:55]
	v_add_f64 v[64:65], v[0:1], v[30:31]
	v_add_f64 v[16:17], v[20:21], -v[16:17]
	v_fma_f64 v[84:85], v[4:5], 2.0, -v[80:81]
	v_fma_f64 v[86:87], v[26:27], 2.0, -v[82:83]
	;; [unrolled: 1-line block ×7, first 2 shown]
	v_accvgpr_read_b32 v0, a56
	v_fma_f64 v[20:21], v[20:21], 2.0, -v[16:17]
	v_add_f64 v[60:61], v[4:5], -v[32:33]
	v_add_f64 v[62:63], v[26:27], -v[34:35]
	;; [unrolled: 1-line block ×3, first 2 shown]
	s_barrier
	ds_write_b128 v0, v[10:13]
	ds_write_b128 v0, v[18:21] offset:208
	ds_write_b128 v0, v[6:9] offset:416
	ds_write_b128 v0, v[14:17] offset:624
	v_accvgpr_read_b32 v0, a57
	v_fma_f64 v[52:53], v[4:5], 2.0, -v[60:61]
	v_fma_f64 v[54:55], v[26:27], 2.0, -v[62:63]
	;; [unrolled: 1-line block ×3, first 2 shown]
	ds_write_b128 v0, v[68:71]
	ds_write_b128 v0, v[76:79] offset:208
	ds_write_b128 v0, v[22:25] offset:416
	;; [unrolled: 1-line block ×3, first 2 shown]
	v_accvgpr_read_b32 v0, a58
	ds_write_b128 v0, v[84:87]
	ds_write_b128 v0, v[100:103] offset:208
	ds_write_b128 v0, v[80:83] offset:416
	;; [unrolled: 1-line block ×3, first 2 shown]
	s_and_saveexec_b64 s[2:3], vcc
	s_cbranch_execz .LBB0_13
; %bb.12:
	v_accvgpr_read_b32 v0, a1
	v_accvgpr_read_b32 v1, a3
	v_mad_legacy_u16 v0, v0, 52, v1
	v_lshlrev_b32_e32 v0, 4, v0
	ds_write_b128 v0, v[52:55]
	ds_write_b128 v0, v[56:59] offset:208
	ds_write_b128 v0, v[60:63] offset:416
	;; [unrolled: 1-line block ×3, first 2 shown]
.LBB0_13:
	s_or_b64 exec, exec, s[2:3]
	s_waitcnt lgkmcnt(0)
	s_barrier
	ds_read_b128 v[76:79], v252
	ds_read_b128 v[72:75], v252 offset:2496
	ds_read_b128 v[196:199], v252 offset:10816
	;; [unrolled: 1-line block ×11, first 2 shown]
	s_and_saveexec_b64 s[2:3], s[0:1]
	s_cbranch_execz .LBB0_15
; %bb.14:
	ds_read_b128 v[52:55], v252 offset:9984
	ds_read_b128 v[56:59], v252 offset:20800
	ds_read_b128 v[60:63], v252 offset:31616
.LBB0_15:
	s_or_b64 exec, exec, s[2:3]
	s_waitcnt lgkmcnt(7)
	v_mul_f64 v[6:7], v[110:111], v[192:193]
	v_fma_f64 v[12:13], v[108:109], v[194:195], -v[6:7]
	v_mul_f64 v[6:7], v[122:123], v[140:141]
	v_fma_f64 v[22:23], v[120:121], v[142:143], -v[6:7]
	s_waitcnt lgkmcnt(6)
	v_mul_f64 v[6:7], v[118:119], v[100:101]
	v_fma_f64 v[26:27], v[116:117], v[102:103], -v[6:7]
	s_waitcnt lgkmcnt(3)
	v_mul_f64 v[6:7], v[130:131], v[104:105]
	v_mul_f64 v[0:1], v[114:115], v[198:199]
	v_mul_f64 v[4:5], v[110:111], v[194:195]
	v_fma_f64 v[30:31], v[128:129], v[106:107], -v[6:7]
	s_waitcnt lgkmcnt(1)
	v_mul_f64 v[6:7], v[126:127], v[96:97]
	v_fmac_f64_e32 v[0:1], v[112:113], v[196:197]
	v_mul_f64 v[2:3], v[114:115], v[196:197]
	v_fmac_f64_e32 v[4:5], v[108:109], v[192:193]
	v_fma_f64 v[34:35], v[124:125], v[98:99], -v[6:7]
	v_mul_f64 v[6:7], v[138:139], v[84:85]
	v_fma_f64 v[2:3], v[112:113], v[198:199], -v[2:3]
	v_fma_f64 v[38:39], v[136:137], v[86:87], -v[6:7]
	s_waitcnt lgkmcnt(0)
	v_mul_f64 v[6:7], v[134:135], v[80:81]
	v_add_f64 v[8:9], v[0:1], v[4:5]
	s_mov_b32 s2, 0xe8584caa
	v_fma_f64 v[42:43], v[132:133], v[82:83], -v[6:7]
	v_add_f64 v[6:7], v[76:77], v[0:1]
	v_fmac_f64_e32 v[76:77], -0.5, v[8:9]
	v_add_f64 v[8:9], v[2:3], -v[12:13]
	s_mov_b32 s3, 0xbfebb67a
	s_mov_b32 s9, 0x3febb67a
	;; [unrolled: 1-line block ×3, first 2 shown]
	v_mul_f64 v[20:21], v[122:123], v[142:143]
	v_fma_f64 v[10:11], s[2:3], v[8:9], v[76:77]
	v_fmac_f64_e32 v[76:77], s[8:9], v[8:9]
	v_add_f64 v[8:9], v[78:79], v[2:3]
	v_add_f64 v[2:3], v[2:3], v[12:13]
	v_fmac_f64_e32 v[20:21], v[120:121], v[140:141]
	v_mul_f64 v[24:25], v[118:119], v[102:103]
	v_fmac_f64_e32 v[78:79], -0.5, v[2:3]
	v_add_f64 v[0:1], v[0:1], -v[4:5]
	v_fmac_f64_e32 v[24:25], v[116:117], v[100:101]
	v_add_f64 v[8:9], v[8:9], v[12:13]
	v_fma_f64 v[12:13], s[8:9], v[0:1], v[78:79]
	v_fmac_f64_e32 v[78:79], s[2:3], v[0:1]
	v_add_f64 v[0:1], v[72:73], v[20:21]
	v_add_f64 v[14:15], v[0:1], v[24:25]
	;; [unrolled: 1-line block ×3, first 2 shown]
	v_fmac_f64_e32 v[72:73], -0.5, v[0:1]
	v_add_f64 v[0:1], v[22:23], -v[26:27]
	v_fma_f64 v[18:19], s[2:3], v[0:1], v[72:73]
	v_fmac_f64_e32 v[72:73], s[8:9], v[0:1]
	v_add_f64 v[0:1], v[74:75], v[22:23]
	v_mul_f64 v[28:29], v[130:131], v[106:107]
	v_add_f64 v[16:17], v[0:1], v[26:27]
	v_add_f64 v[0:1], v[22:23], v[26:27]
	v_fmac_f64_e32 v[28:29], v[128:129], v[104:105]
	v_mul_f64 v[32:33], v[126:127], v[98:99]
	v_fmac_f64_e32 v[74:75], -0.5, v[0:1]
	v_add_f64 v[0:1], v[20:21], -v[24:25]
	v_fmac_f64_e32 v[32:33], v[124:125], v[96:97]
	v_fma_f64 v[20:21], s[8:9], v[0:1], v[74:75]
	v_fmac_f64_e32 v[74:75], s[2:3], v[0:1]
	v_add_f64 v[0:1], v[68:69], v[28:29]
	v_add_f64 v[22:23], v[0:1], v[32:33]
	v_add_f64 v[0:1], v[28:29], v[32:33]
	v_mul_f64 v[40:41], v[134:135], v[82:83]
	v_fmac_f64_e32 v[68:69], -0.5, v[0:1]
	v_add_f64 v[0:1], v[30:31], -v[34:35]
	v_fmac_f64_e32 v[40:41], v[132:133], v[80:81]
	v_fma_f64 v[80:81], s[2:3], v[0:1], v[68:69]
	v_fmac_f64_e32 v[68:69], s[8:9], v[0:1]
	v_add_f64 v[0:1], v[70:71], v[30:31]
	v_mul_f64 v[36:37], v[138:139], v[86:87]
	v_add_f64 v[24:25], v[0:1], v[34:35]
	v_add_f64 v[0:1], v[30:31], v[34:35]
	v_fmac_f64_e32 v[36:37], v[136:137], v[84:85]
	v_fmac_f64_e32 v[70:71], -0.5, v[0:1]
	v_add_f64 v[0:1], v[28:29], -v[32:33]
	v_fma_f64 v[82:83], s[8:9], v[0:1], v[70:71]
	v_fmac_f64_e32 v[70:71], s[2:3], v[0:1]
	v_add_f64 v[0:1], v[64:65], v[36:37]
	v_add_f64 v[84:85], v[0:1], v[40:41]
	;; [unrolled: 1-line block ×3, first 2 shown]
	v_fmac_f64_e32 v[64:65], -0.5, v[0:1]
	v_add_f64 v[0:1], v[38:39], -v[42:43]
	v_fma_f64 v[96:97], s[2:3], v[0:1], v[64:65]
	v_fmac_f64_e32 v[64:65], s[8:9], v[0:1]
	v_add_f64 v[0:1], v[66:67], v[38:39]
	v_add_f64 v[86:87], v[0:1], v[42:43]
	;; [unrolled: 1-line block ×3, first 2 shown]
	v_fmac_f64_e32 v[66:67], -0.5, v[0:1]
	v_add_f64 v[0:1], v[36:37], -v[40:41]
	v_add_f64 v[6:7], v[6:7], v[4:5]
	v_fma_f64 v[98:99], s[8:9], v[0:1], v[66:67]
	v_fmac_f64_e32 v[66:67], s[2:3], v[0:1]
	v_accvgpr_read_b32 v0, a60
	s_barrier
	ds_write_b128 v0, v[6:9]
	ds_write_b128 v0, v[10:13] offset:832
	ds_write_b128 v0, v[76:79] offset:1664
	v_accvgpr_read_b32 v0, a61
	ds_write_b128 v0, v[14:17]
	ds_write_b128 v0, v[18:21] offset:832
	ds_write_b128 v0, v[72:75] offset:1664
	v_accvgpr_read_b32 v0, a62
	;; [unrolled: 4-line block ×3, first 2 shown]
	ds_write_b128 v0, v[84:87]
	ds_write_b128 v0, v[96:99] offset:832
	ds_write_b128 v0, v[64:67] offset:1664
	s_and_saveexec_b64 s[10:11], s[0:1]
	s_cbranch_execz .LBB0_17
; %bb.16:
	v_mul_f64 v[0:1], v[94:95], v[56:57]
	v_mul_f64 v[2:3], v[90:91], v[60:61]
	v_fma_f64 v[0:1], v[92:93], v[58:59], -v[0:1]
	v_fma_f64 v[2:3], v[88:89], v[62:63], -v[2:3]
	v_mul_f64 v[12:13], v[94:95], v[58:59]
	v_mul_f64 v[16:17], v[90:91], v[62:63]
	v_add_f64 v[4:5], v[2:3], v[0:1]
	v_fmac_f64_e32 v[12:13], v[92:93], v[56:57]
	v_fmac_f64_e32 v[16:17], v[88:89], v[60:61]
	v_fma_f64 v[6:7], -0.5, v[4:5], v[54:55]
	v_add_f64 v[4:5], v[12:13], -v[16:17]
	v_fma_f64 v[10:11], s[2:3], v[4:5], v[6:7]
	v_fmac_f64_e32 v[6:7], s[8:9], v[4:5]
	v_add_f64 v[4:5], v[54:55], v[0:1]
	v_add_f64 v[14:15], v[2:3], v[4:5]
	;; [unrolled: 1-line block ×3, first 2 shown]
	v_fma_f64 v[4:5], -0.5, v[4:5], v[52:53]
	v_add_f64 v[0:1], v[0:1], -v[2:3]
	v_fma_f64 v[8:9], s[8:9], v[0:1], v[4:5]
	v_fmac_f64_e32 v[4:5], s[2:3], v[0:1]
	v_add_f64 v[0:1], v[52:53], v[12:13]
	v_add_f64 v[12:13], v[16:17], v[0:1]
	v_accvgpr_read_b32 v0, a59
	ds_write_b128 v0, v[12:15] offset:29952
	ds_write_b128 v0, v[4:7] offset:30784
	;; [unrolled: 1-line block ×3, first 2 shown]
.LBB0_17:
	s_or_b64 exec, exec, s[10:11]
	s_waitcnt lgkmcnt(0)
	s_barrier
	ds_read_b128 v[56:59], v252
	ds_read_b128 v[4:7], v252 offset:2496
	ds_read_b128 v[8:11], v252 offset:4992
	ds_read_b128 v[12:15], v252 offset:7488
	ds_read_b128 v[16:19], v252 offset:9984
	ds_read_b128 v[20:23], v252 offset:12480
	ds_read_b128 v[24:27], v252 offset:14976
	ds_read_b128 v[52:55], v252 offset:17472
	ds_read_b128 v[84:87], v252 offset:19968
	ds_read_b128 v[92:95], v252 offset:22464
	ds_read_b128 v[96:99], v252 offset:24960
	ds_read_b128 v[100:103], v252 offset:27456
	ds_read_b128 v[104:107], v252 offset:29952
	s_waitcnt lgkmcnt(11)
	v_mul_f64 v[2:3], v[158:159], v[6:7]
	v_fmac_f64_e32 v[2:3], v[156:157], v[4:5]
	v_mul_f64 v[4:5], v[158:159], v[4:5]
	v_fma_f64 v[4:5], v[156:157], v[6:7], -v[4:5]
	s_waitcnt lgkmcnt(10)
	v_mul_f64 v[6:7], v[154:155], v[10:11]
	v_fmac_f64_e32 v[6:7], v[152:153], v[8:9]
	v_mul_f64 v[8:9], v[154:155], v[8:9]
	v_fma_f64 v[8:9], v[152:153], v[10:11], -v[8:9]
	s_waitcnt lgkmcnt(9)
	v_mul_f64 v[10:11], v[150:151], v[12:13]
	v_fma_f64 v[90:91], v[148:149], v[14:15], -v[10:11]
	s_waitcnt lgkmcnt(8)
	v_mul_f64 v[10:11], v[146:147], v[16:17]
	s_waitcnt lgkmcnt(7)
	v_mul_f64 v[72:73], v[174:175], v[22:23]
	v_fma_f64 v[82:83], v[144:145], v[18:19], -v[10:11]
	v_fmac_f64_e32 v[72:73], v[172:173], v[20:21]
	v_mul_f64 v[10:11], v[174:175], v[20:21]
	v_add_f64 v[20:21], v[58:59], v[4:5]
	v_mul_f64 v[88:89], v[150:151], v[14:15]
	v_mul_f64 v[80:81], v[146:147], v[18:19]
	v_add_f64 v[18:19], v[56:57], v[2:3]
	v_add_f64 v[20:21], v[20:21], v[8:9]
	v_fmac_f64_e32 v[88:89], v[148:149], v[12:13]
	v_add_f64 v[18:19], v[18:19], v[6:7]
	v_add_f64 v[20:21], v[20:21], v[90:91]
	v_fmac_f64_e32 v[80:81], v[144:145], v[16:17]
	v_fma_f64 v[74:75], v[172:173], v[22:23], -v[10:11]
	s_waitcnt lgkmcnt(6)
	v_mul_f64 v[10:11], v[170:171], v[24:25]
	v_add_f64 v[18:19], v[18:19], v[88:89]
	v_add_f64 v[20:21], v[20:21], v[82:83]
	v_mul_f64 v[64:65], v[170:171], v[26:27]
	v_fma_f64 v[66:67], v[168:169], v[26:27], -v[10:11]
	s_waitcnt lgkmcnt(5)
	v_mul_f64 v[10:11], v[166:167], v[52:53]
	v_add_f64 v[18:19], v[18:19], v[80:81]
	v_add_f64 v[20:21], v[20:21], v[74:75]
	v_fmac_f64_e32 v[64:65], v[168:169], v[24:25]
	v_mul_f64 v[68:69], v[166:167], v[54:55]
	v_fma_f64 v[70:71], v[164:165], v[54:55], -v[10:11]
	s_waitcnt lgkmcnt(4)
	v_mul_f64 v[10:11], v[162:163], v[84:85]
	v_add_f64 v[18:19], v[18:19], v[72:73]
	v_add_f64 v[20:21], v[20:21], v[66:67]
	v_fmac_f64_e32 v[68:69], v[164:165], v[52:53]
	;; [unrolled: 7-line block ×5, first 2 shown]
	v_mul_f64 v[10:11], v[182:183], v[102:103]
	v_fma_f64 v[12:13], v[180:181], v[102:103], -v[12:13]
	s_waitcnt lgkmcnt(0)
	v_mul_f64 v[16:17], v[178:179], v[104:105]
	v_add_f64 v[18:19], v[18:19], v[84:85]
	v_add_f64 v[20:21], v[20:21], v[94:95]
	v_mov_b32_e32 v0, s12
	v_mov_b32_e32 v1, s13
	v_accvgpr_read_b32 v108, a2
	v_fmac_f64_e32 v[10:11], v[180:181], v[100:101]
	v_mul_f64 v[14:15], v[178:179], v[106:107]
	v_fma_f64 v[16:17], v[176:177], v[106:107], -v[16:17]
	v_add_f64 v[18:19], v[18:19], v[92:93]
	v_add_f64 v[20:21], v[20:21], v[12:13]
	s_mov_b32 s18, 0xe00740e9
	s_mov_b32 s12, 0x1ea71119
	;; [unrolled: 1-line block ×5, first 2 shown]
	v_mad_u64_u32 v[60:61], s[0:1], s6, v108, 0
	v_fmac_f64_e32 v[14:15], v[176:177], v[104:105]
	v_add_f64 v[18:19], v[18:19], v[10:11]
	v_add_f64 v[54:55], v[20:21], v[16:17]
	;; [unrolled: 1-line block ×3, first 2 shown]
	s_mov_b32 s19, 0x3fec55a7
	s_mov_b32 s13, 0x3fe22d96
	;; [unrolled: 1-line block ×6, first 2 shown]
	v_add_f64 v[52:53], v[18:19], v[14:15]
	v_add_f64 v[18:19], v[2:3], v[14:15]
	v_add_f64 v[2:3], v[2:3], -v[14:15]
	s_mov_b32 s16, 0x4267c47c
	v_mul_f64 v[22:23], v[20:21], s[18:19]
	s_mov_b32 s10, 0x42a4c3d2
	v_mul_f64 v[30:31], v[20:21], s[12:13]
	;; [unrolled: 2-line block ×6, first 2 shown]
	s_mov_b32 s41, 0x3fcea1e5
	s_mov_b32 s40, s36
	v_add_f64 v[4:5], v[4:5], -v[16:17]
	s_mov_b32 s17, 0xbfddbe06
	s_mov_b32 s21, 0x3fddbe06
	;; [unrolled: 1-line block ×15, first 2 shown]
	v_fma_f64 v[104:105], s[40:41], v[2:3], v[20:21]
	v_fmac_f64_e32 v[20:21], s[36:37], v[2:3]
	v_mul_f64 v[14:15], v[4:5], s[16:17]
	v_fma_f64 v[24:25], s[20:21], v[2:3], v[22:23]
	v_fmac_f64_e32 v[22:23], s[16:17], v[2:3]
	v_mul_f64 v[26:27], v[4:5], s[10:11]
	;; [unrolled: 3-line block ×6, first 2 shown]
	v_add_f64 v[2:3], v[58:59], v[20:21]
	v_add_f64 v[20:21], v[8:9], v[12:13]
	v_add_f64 v[8:9], v[8:9], -v[12:13]
	v_fma_f64 v[16:17], s[18:19], v[18:19], v[14:15]
	v_fma_f64 v[14:15], v[18:19], s[18:19], -v[14:15]
	v_fma_f64 v[28:29], s[12:13], v[18:19], v[26:27]
	v_fma_f64 v[26:27], v[18:19], s[12:13], -v[26:27]
	;; [unrolled: 2-line block ×6, first 2 shown]
	v_add_f64 v[18:19], v[6:7], v[10:11]
	v_add_f64 v[6:7], v[6:7], -v[10:11]
	v_mul_f64 v[10:11], v[8:9], s[10:11]
	v_add_f64 v[16:17], v[56:57], v[16:17]
	v_fma_f64 v[12:13], s[12:13], v[18:19], v[10:11]
	v_add_f64 v[12:13], v[12:13], v[16:17]
	v_mul_f64 v[16:17], v[20:21], s[12:13]
	v_add_f64 v[14:15], v[56:57], v[14:15]
	v_add_f64 v[22:23], v[58:59], v[22:23]
	;; [unrolled: 1-line block ×12, first 2 shown]
	v_fma_f64 v[56:57], s[14:15], v[6:7], v[16:17]
	v_fma_f64 v[10:11], v[18:19], s[12:13], -v[10:11]
	v_fmac_f64_e32 v[16:17], s[10:11], v[6:7]
	v_add_f64 v[10:11], v[10:11], v[14:15]
	v_add_f64 v[14:15], v[16:17], v[22:23]
	v_mul_f64 v[16:17], v[8:9], s[22:23]
	v_fma_f64 v[22:23], s[24:25], v[18:19], v[16:17]
	v_add_f64 v[24:25], v[58:59], v[24:25]
	v_add_f64 v[22:23], v[22:23], v[28:29]
	v_mul_f64 v[28:29], v[20:21], s[24:25]
	v_add_f64 v[30:31], v[58:59], v[30:31]
	v_add_f64 v[24:25], v[56:57], v[24:25]
	v_fma_f64 v[56:57], s[26:27], v[6:7], v[28:29]
	v_fma_f64 v[16:17], v[18:19], s[24:25], -v[16:17]
	v_fmac_f64_e32 v[28:29], s[22:23], v[6:7]
	v_add_f64 v[16:17], v[16:17], v[26:27]
	v_add_f64 v[26:27], v[28:29], v[30:31]
	v_mul_f64 v[28:29], v[8:9], s[36:37]
	v_fma_f64 v[30:31], s[38:39], v[18:19], v[28:29]
	v_add_f64 v[32:33], v[58:59], v[32:33]
	v_add_f64 v[30:31], v[30:31], v[36:37]
	v_mul_f64 v[36:37], v[20:21], s[38:39]
	v_add_f64 v[38:39], v[58:59], v[38:39]
	v_add_f64 v[32:33], v[56:57], v[32:33]
	;; [unrolled: 12-line block ×3, first 2 shown]
	v_fma_f64 v[56:57], s[28:29], v[6:7], v[44:45]
	v_fma_f64 v[36:37], v[18:19], s[30:31], -v[36:37]
	v_fmac_f64_e32 v[44:45], s[34:35], v[6:7]
	v_add_f64 v[48:49], v[58:59], v[48:49]
	v_add_f64 v[36:37], v[36:37], v[42:43]
	;; [unrolled: 1-line block ×3, first 2 shown]
	v_mul_f64 v[44:45], v[8:9], s[8:9]
	v_add_f64 v[48:49], v[56:57], v[48:49]
	v_fma_f64 v[46:47], s[2:3], v[18:19], v[44:45]
	v_mul_f64 v[56:57], v[20:21], s[2:3]
	v_mul_f64 v[20:21], v[20:21], s[18:19]
	v_add_f64 v[46:47], v[46:47], v[96:97]
	v_fma_f64 v[96:97], s[16:17], v[6:7], v[20:21]
	v_fmac_f64_e32 v[20:21], s[20:21], v[6:7]
	v_add_f64 v[100:101], v[58:59], v[100:101]
	v_add_f64 v[98:99], v[58:59], v[98:99]
	;; [unrolled: 1-line block ×3, first 2 shown]
	v_fma_f64 v[58:59], s[0:1], v[6:7], v[56:57]
	v_fma_f64 v[44:45], v[18:19], s[2:3], -v[44:45]
	v_fmac_f64_e32 v[56:57], s[8:9], v[6:7]
	v_mul_f64 v[8:9], v[8:9], s[20:21]
	v_add_f64 v[2:3], v[20:21], v[2:3]
	v_add_f64 v[20:21], v[90:91], -v[94:95]
	v_add_f64 v[44:45], v[44:45], v[50:51]
	v_add_f64 v[50:51], v[56:57], v[98:99]
	v_fma_f64 v[56:57], s[18:19], v[18:19], v[8:9]
	v_fma_f64 v[8:9], v[18:19], s[18:19], -v[8:9]
	v_add_f64 v[6:7], v[88:89], v[92:93]
	v_add_f64 v[18:19], v[88:89], -v[92:93]
	v_mul_f64 v[88:89], v[20:21], s[0:1]
	v_add_f64 v[4:5], v[8:9], v[4:5]
	v_add_f64 v[8:9], v[90:91], v[94:95]
	v_fma_f64 v[90:91], s[2:3], v[6:7], v[88:89]
	v_add_f64 v[12:13], v[90:91], v[12:13]
	v_mul_f64 v[90:91], v[8:9], s[2:3]
	v_fma_f64 v[88:89], v[6:7], s[2:3], -v[88:89]
	v_fma_f64 v[92:93], s[8:9], v[18:19], v[90:91]
	v_add_f64 v[10:11], v[88:89], v[10:11]
	v_fmac_f64_e32 v[90:91], s[0:1], v[18:19]
	v_mul_f64 v[88:89], v[20:21], s[36:37]
	v_add_f64 v[14:15], v[90:91], v[14:15]
	v_fma_f64 v[90:91], s[38:39], v[6:7], v[88:89]
	v_add_f64 v[22:23], v[90:91], v[22:23]
	v_mul_f64 v[90:91], v[8:9], s[38:39]
	v_fma_f64 v[88:89], v[6:7], s[38:39], -v[88:89]
	v_add_f64 v[24:25], v[92:93], v[24:25]
	v_fma_f64 v[92:93], s[40:41], v[18:19], v[90:91]
	v_add_f64 v[16:17], v[88:89], v[16:17]
	v_fmac_f64_e32 v[90:91], s[36:37], v[18:19]
	v_mul_f64 v[88:89], v[20:21], s[26:27]
	v_add_f64 v[26:27], v[90:91], v[26:27]
	v_fma_f64 v[90:91], s[24:25], v[6:7], v[88:89]
	v_add_f64 v[30:31], v[90:91], v[30:31]
	v_mul_f64 v[90:91], v[8:9], s[24:25]
	v_fma_f64 v[88:89], v[6:7], s[24:25], -v[88:89]
	v_add_f64 v[32:33], v[92:93], v[32:33]
	v_fma_f64 v[92:93], s[22:23], v[18:19], v[90:91]
	v_add_f64 v[28:29], v[88:89], v[28:29]
	v_fmac_f64_e32 v[90:91], s[26:27], v[18:19]
	v_mul_f64 v[88:89], v[20:21], s[20:21]
	v_add_f64 v[34:35], v[90:91], v[34:35]
	v_fma_f64 v[90:91], s[18:19], v[6:7], v[88:89]
	v_add_f64 v[38:39], v[90:91], v[38:39]
	v_mul_f64 v[90:91], v[8:9], s[18:19]
	v_fma_f64 v[88:89], v[6:7], s[18:19], -v[88:89]
	v_add_f64 v[40:41], v[92:93], v[40:41]
	v_fma_f64 v[92:93], s[16:17], v[18:19], v[90:91]
	v_add_f64 v[36:37], v[88:89], v[36:37]
	v_fmac_f64_e32 v[90:91], s[20:21], v[18:19]
	v_mul_f64 v[88:89], v[20:21], s[10:11]
	v_add_f64 v[42:43], v[90:91], v[42:43]
	v_fma_f64 v[90:91], s[12:13], v[6:7], v[88:89]
	v_fma_f64 v[88:89], v[6:7], s[12:13], -v[88:89]
	v_mul_f64 v[20:21], v[20:21], s[28:29]
	v_add_f64 v[56:57], v[56:57], v[102:103]
	v_add_f64 v[46:47], v[90:91], v[46:47]
	v_mul_f64 v[90:91], v[8:9], s[12:13]
	v_add_f64 v[44:45], v[88:89], v[44:45]
	v_fma_f64 v[88:89], s[30:31], v[6:7], v[20:21]
	v_mul_f64 v[8:9], v[8:9], s[30:31]
	v_fma_f64 v[6:7], v[6:7], s[30:31], -v[20:21]
	v_add_f64 v[20:21], v[82:83], -v[86:87]
	v_add_f64 v[48:49], v[92:93], v[48:49]
	v_fma_f64 v[92:93], s[14:15], v[18:19], v[90:91]
	v_fmac_f64_e32 v[90:91], s[10:11], v[18:19]
	v_add_f64 v[56:57], v[88:89], v[56:57]
	v_fma_f64 v[88:89], s[34:35], v[18:19], v[8:9]
	v_add_f64 v[4:5], v[6:7], v[4:5]
	v_fmac_f64_e32 v[8:9], s[28:29], v[18:19]
	v_add_f64 v[6:7], v[80:81], v[84:85]
	v_add_f64 v[18:19], v[80:81], -v[84:85]
	v_mul_f64 v[80:81], v[20:21], s[22:23]
	v_add_f64 v[2:3], v[8:9], v[2:3]
	v_add_f64 v[8:9], v[82:83], v[86:87]
	v_fma_f64 v[82:83], s[24:25], v[6:7], v[80:81]
	v_add_f64 v[12:13], v[82:83], v[12:13]
	v_mul_f64 v[82:83], v[8:9], s[24:25]
	v_fma_f64 v[80:81], v[6:7], s[24:25], -v[80:81]
	v_fma_f64 v[84:85], s[26:27], v[18:19], v[82:83]
	v_add_f64 v[10:11], v[80:81], v[10:11]
	v_fmac_f64_e32 v[82:83], s[22:23], v[18:19]
	v_mul_f64 v[80:81], v[20:21], s[34:35]
	v_add_f64 v[14:15], v[82:83], v[14:15]
	v_fma_f64 v[82:83], s[30:31], v[6:7], v[80:81]
	v_add_f64 v[22:23], v[82:83], v[22:23]
	v_mul_f64 v[82:83], v[8:9], s[30:31]
	v_fma_f64 v[80:81], v[6:7], s[30:31], -v[80:81]
	v_add_f64 v[24:25], v[84:85], v[24:25]
	v_fma_f64 v[84:85], s[28:29], v[18:19], v[82:83]
	v_add_f64 v[16:17], v[80:81], v[16:17]
	v_fmac_f64_e32 v[82:83], s[34:35], v[18:19]
	v_mul_f64 v[80:81], v[20:21], s[20:21]
	v_add_f64 v[26:27], v[82:83], v[26:27]
	v_fma_f64 v[82:83], s[18:19], v[6:7], v[80:81]
	v_add_f64 v[30:31], v[82:83], v[30:31]
	v_mul_f64 v[82:83], v[8:9], s[18:19]
	v_fma_f64 v[80:81], v[6:7], s[18:19], -v[80:81]
	v_add_f64 v[32:33], v[84:85], v[32:33]
	;; [unrolled: 10-line block ×3, first 2 shown]
	v_fma_f64 v[84:85], s[8:9], v[18:19], v[82:83]
	v_add_f64 v[36:37], v[80:81], v[36:37]
	v_fmac_f64_e32 v[82:83], s[0:1], v[18:19]
	v_mul_f64 v[80:81], v[20:21], s[40:41]
	v_add_f64 v[42:43], v[82:83], v[42:43]
	v_fma_f64 v[82:83], s[38:39], v[6:7], v[80:81]
	v_fma_f64 v[80:81], v[6:7], s[38:39], -v[80:81]
	v_mul_f64 v[20:21], v[20:21], s[14:15]
	v_add_f64 v[46:47], v[82:83], v[46:47]
	v_mul_f64 v[82:83], v[8:9], s[38:39]
	v_add_f64 v[44:45], v[80:81], v[44:45]
	v_fma_f64 v[80:81], s[12:13], v[6:7], v[20:21]
	v_mul_f64 v[8:9], v[8:9], s[12:13]
	v_fma_f64 v[6:7], v[6:7], s[12:13], -v[20:21]
	v_add_f64 v[20:21], v[74:75], -v[78:79]
	v_add_f64 v[48:49], v[84:85], v[48:49]
	v_fma_f64 v[84:85], s[36:37], v[18:19], v[82:83]
	v_fmac_f64_e32 v[82:83], s[40:41], v[18:19]
	v_add_f64 v[56:57], v[80:81], v[56:57]
	v_fma_f64 v[80:81], s[10:11], v[18:19], v[8:9]
	v_add_f64 v[4:5], v[6:7], v[4:5]
	v_fmac_f64_e32 v[8:9], s[14:15], v[18:19]
	v_add_f64 v[6:7], v[72:73], v[76:77]
	v_add_f64 v[18:19], v[72:73], -v[76:77]
	v_mul_f64 v[72:73], v[20:21], s[28:29]
	v_add_f64 v[2:3], v[8:9], v[2:3]
	v_add_f64 v[8:9], v[74:75], v[78:79]
	v_fma_f64 v[74:75], s[30:31], v[6:7], v[72:73]
	v_add_f64 v[12:13], v[74:75], v[12:13]
	v_mul_f64 v[74:75], v[8:9], s[30:31]
	v_fma_f64 v[72:73], v[6:7], s[30:31], -v[72:73]
	v_fma_f64 v[76:77], s[34:35], v[18:19], v[74:75]
	v_add_f64 v[10:11], v[72:73], v[10:11]
	v_fmac_f64_e32 v[74:75], s[28:29], v[18:19]
	v_mul_f64 v[72:73], v[20:21], s[8:9]
	v_add_f64 v[14:15], v[74:75], v[14:15]
	v_fma_f64 v[74:75], s[2:3], v[6:7], v[72:73]
	v_add_f64 v[22:23], v[74:75], v[22:23]
	v_mul_f64 v[74:75], v[8:9], s[2:3]
	v_fma_f64 v[72:73], v[6:7], s[2:3], -v[72:73]
	v_add_f64 v[24:25], v[76:77], v[24:25]
	v_fma_f64 v[76:77], s[0:1], v[18:19], v[74:75]
	v_add_f64 v[16:17], v[72:73], v[16:17]
	v_fmac_f64_e32 v[74:75], s[8:9], v[18:19]
	v_mul_f64 v[72:73], v[20:21], s[10:11]
	v_add_f64 v[26:27], v[74:75], v[26:27]
	v_fma_f64 v[74:75], s[12:13], v[6:7], v[72:73]
	v_add_f64 v[30:31], v[74:75], v[30:31]
	v_mul_f64 v[74:75], v[8:9], s[12:13]
	v_fma_f64 v[72:73], v[6:7], s[12:13], -v[72:73]
	v_add_f64 v[32:33], v[76:77], v[32:33]
	;; [unrolled: 10-line block ×3, first 2 shown]
	v_fma_f64 v[76:77], s[36:37], v[18:19], v[74:75]
	v_add_f64 v[36:37], v[72:73], v[36:37]
	v_fmac_f64_e32 v[74:75], s[40:41], v[18:19]
	v_mul_f64 v[72:73], v[20:21], s[20:21]
	v_add_f64 v[58:59], v[58:59], v[100:101]
	v_add_f64 v[42:43], v[74:75], v[42:43]
	v_fma_f64 v[74:75], s[18:19], v[6:7], v[72:73]
	v_add_f64 v[58:59], v[92:93], v[58:59]
	v_add_f64 v[46:47], v[74:75], v[46:47]
	v_mul_f64 v[74:75], v[8:9], s[18:19]
	v_add_f64 v[58:59], v[84:85], v[58:59]
	v_add_f64 v[48:49], v[76:77], v[48:49]
	v_fma_f64 v[76:77], s[16:17], v[18:19], v[74:75]
	v_add_f64 v[76:77], v[76:77], v[58:59]
	v_fma_f64 v[58:59], v[6:7], s[18:19], -v[72:73]
	v_mul_f64 v[20:21], v[20:21], s[22:23]
	v_add_f64 v[44:45], v[58:59], v[44:45]
	v_fma_f64 v[58:59], s[24:25], v[6:7], v[20:21]
	v_mul_f64 v[8:9], v[8:9], s[24:25]
	v_add_f64 v[50:51], v[90:91], v[50:51]
	v_add_f64 v[78:79], v[58:59], v[56:57]
	v_fma_f64 v[56:57], s[26:27], v[18:19], v[8:9]
	v_fmac_f64_e32 v[8:9], s[22:23], v[18:19]
	v_add_f64 v[90:91], v[66:67], -v[70:71]
	v_add_f64 v[96:97], v[96:97], v[104:105]
	v_fma_f64 v[6:7], v[6:7], s[24:25], -v[20:21]
	v_add_f64 v[2:3], v[8:9], v[2:3]
	v_add_f64 v[84:85], v[64:65], v[68:69]
	v_mul_f64 v[8:9], v[90:91], s[36:37]
	v_add_f64 v[88:89], v[88:89], v[96:97]
	v_add_f64 v[50:51], v[82:83], v[50:51]
	;; [unrolled: 1-line block ×4, first 2 shown]
	v_fma_f64 v[4:5], s[38:39], v[84:85], v[8:9]
	v_add_f64 v[80:81], v[80:81], v[88:89]
	v_add_f64 v[88:89], v[64:65], -v[68:69]
	v_add_f64 v[4:5], v[4:5], v[12:13]
	v_mul_f64 v[12:13], v[86:87], s[38:39]
	v_fmac_f64_e32 v[74:75], s[20:21], v[18:19]
	v_fma_f64 v[6:7], s[40:41], v[88:89], v[12:13]
	v_fma_f64 v[8:9], v[84:85], s[38:39], -v[8:9]
	v_fmac_f64_e32 v[12:13], s[36:37], v[88:89]
	v_mul_f64 v[18:19], v[90:91], s[20:21]
	v_mul_f64 v[20:21], v[86:87], s[18:19]
	v_add_f64 v[6:7], v[6:7], v[24:25]
	v_add_f64 v[8:9], v[8:9], v[10:11]
	v_add_f64 v[10:11], v[12:13], v[14:15]
	v_fma_f64 v[12:13], s[18:19], v[84:85], v[18:19]
	v_fma_f64 v[14:15], s[16:17], v[88:89], v[20:21]
	v_fma_f64 v[18:19], v[84:85], s[18:19], -v[18:19]
	v_fmac_f64_e32 v[20:21], s[20:21], v[88:89]
	v_mul_f64 v[24:25], v[90:91], s[28:29]
	v_add_f64 v[16:17], v[18:19], v[16:17]
	v_add_f64 v[18:19], v[20:21], v[26:27]
	v_fma_f64 v[20:21], s[30:31], v[84:85], v[24:25]
	v_fma_f64 v[24:25], v[84:85], s[30:31], -v[24:25]
	v_add_f64 v[24:25], v[24:25], v[28:29]
	v_mul_f64 v[28:29], v[90:91], s[14:15]
	v_add_f64 v[20:21], v[20:21], v[30:31]
	v_fma_f64 v[30:31], s[12:13], v[84:85], v[28:29]
	v_add_f64 v[80:81], v[56:57], v[80:81]
	v_add_f64 v[56:57], v[30:31], v[38:39]
	v_mul_f64 v[30:31], v[86:87], s[12:13]
	v_fma_f64 v[28:29], v[84:85], s[12:13], -v[28:29]
	v_add_f64 v[14:15], v[14:15], v[32:33]
	v_fma_f64 v[32:33], s[10:11], v[88:89], v[30:31]
	v_add_f64 v[64:65], v[28:29], v[36:37]
	v_fmac_f64_e32 v[30:31], s[14:15], v[88:89]
	v_mul_f64 v[28:29], v[90:91], s[22:23]
	v_add_f64 v[66:67], v[30:31], v[42:43]
	v_fma_f64 v[30:31], s[24:25], v[84:85], v[28:29]
	v_add_f64 v[68:69], v[30:31], v[46:47]
	v_mul_f64 v[30:31], v[86:87], s[24:25]
	v_fma_f64 v[28:29], v[84:85], s[24:25], -v[28:29]
	v_add_f64 v[50:51], v[74:75], v[50:51]
	v_add_f64 v[58:59], v[32:33], v[48:49]
	v_fma_f64 v[32:33], s[26:27], v[88:89], v[30:31]
	v_add_f64 v[72:73], v[28:29], v[44:45]
	v_fmac_f64_e32 v[30:31], s[22:23], v[88:89]
	v_mul_f64 v[28:29], v[90:91], s[8:9]
	v_add_f64 v[74:75], v[30:31], v[50:51]
	v_fma_f64 v[30:31], s[2:3], v[84:85], v[28:29]
	v_mul_f64 v[26:27], v[86:87], s[30:31]
	v_add_f64 v[70:71], v[32:33], v[76:77]
	v_add_f64 v[76:77], v[30:31], v[78:79]
	v_mul_f64 v[30:31], v[86:87], s[2:3]
	v_add_f64 v[12:13], v[12:13], v[22:23]
	v_fma_f64 v[22:23], s[34:35], v[88:89], v[26:27]
	v_fmac_f64_e32 v[26:27], s[28:29], v[88:89]
	v_fma_f64 v[32:33], s[0:1], v[88:89], v[30:31]
	v_fma_f64 v[28:29], v[84:85], s[2:3], -v[28:29]
	v_fmac_f64_e32 v[30:31], s[8:9], v[88:89]
	v_add_f64 v[22:23], v[22:23], v[40:41]
	v_add_f64 v[26:27], v[26:27], v[34:35]
	;; [unrolled: 1-line block ×5, first 2 shown]
	ds_write_b128 v252, v[52:55]
	ds_write_b128 v252, v[4:7] offset:2496
	ds_write_b128 v252, v[12:15] offset:4992
	;; [unrolled: 1-line block ×12, first 2 shown]
	s_waitcnt lgkmcnt(0)
	s_barrier
	ds_read_b128 v[4:7], v252
	ds_read_b128 v[8:11], v252 offset:2496
	v_mov_b32_e32 v62, v61
	v_accvgpr_read_b32 v17, a11
	v_mad_u64_u32 v[2:3], s[0:1], s7, v108, v[62:63]
	v_accvgpr_read_b32 v16, a10
	v_mov_b32_e32 v61, v2
	v_accvgpr_read_b32 v15, a9
	v_accvgpr_read_b32 v14, a8
	s_waitcnt lgkmcnt(1)
	v_mul_f64 v[2:3], v[16:17], v[6:7]
	s_mov_b32 s0, 0xfc7729e9
	v_fmac_f64_e32 v[2:3], v[14:15], v[4:5]
	s_mov_b32 s1, 0x3f402864
	v_mul_f64 v[12:13], v[2:3], s[0:1]
	v_mul_f64 v[2:3], v[16:17], v[4:5]
	v_fma_f64 v[2:3], v[14:15], v[6:7], -v[2:3]
	v_accvgpr_read_b32 v6, a0
	v_mul_f64 v[14:15], v[2:3], s[0:1]
	v_mad_u64_u32 v[2:3], s[2:3], s4, v6, 0
	v_mov_b32_e32 v4, v3
	v_mad_u64_u32 v[4:5], s[2:3], s5, v6, v[4:5]
	v_mov_b32_e32 v3, v4
	v_lshl_add_u64 v[0:1], v[60:61], 4, v[0:1]
	v_lshl_add_u64 v[4:5], v[2:3], 4, v[0:1]
	global_store_dwordx4 v[4:5], v[12:15], off
	v_accvgpr_read_b32 v16, a16
	v_accvgpr_read_b32 v18, a18
	;; [unrolled: 1-line block ×6, first 2 shown]
	s_waitcnt lgkmcnt(0)
	v_mul_f64 v[0:1], v[14:15], v[10:11]
	v_mul_f64 v[2:3], v[14:15], v[8:9]
	v_mov_b32_e32 v14, 0x9c0
	v_fmac_f64_e32 v[0:1], v[12:13], v[8:9]
	v_fma_f64 v[2:3], v[12:13], v[10:11], -v[2:3]
	v_mad_u64_u32 v[12:13], s[2:3], s4, v14, v[4:5]
	ds_read_b128 v[4:7], v252 offset:4992
	s_mul_i32 s2, s5, 0x9c0
	v_mul_f64 v[0:1], v[0:1], s[0:1]
	v_mul_f64 v[2:3], v[2:3], s[0:1]
	v_add_u32_e32 v13, s2, v13
	v_accvgpr_read_b32 v19, a19
	global_store_dwordx4 v[12:13], v[0:3], off
	ds_read_b128 v[0:3], v252 offset:7488
	v_accvgpr_read_b32 v17, a17
	s_waitcnt lgkmcnt(1)
	v_mul_f64 v[8:9], v[18:19], v[6:7]
	v_fmac_f64_e32 v[8:9], v[16:17], v[4:5]
	v_mul_f64 v[4:5], v[18:19], v[4:5]
	v_fma_f64 v[4:5], v[16:17], v[6:7], -v[4:5]
	v_mad_u64_u32 v[12:13], s[6:7], s4, v14, v[12:13]
	v_mul_f64 v[8:9], v[8:9], s[0:1]
	v_mul_f64 v[10:11], v[4:5], s[0:1]
	v_add_u32_e32 v13, s2, v13
	global_store_dwordx4 v[12:13], v[8:11], off
	v_accvgpr_read_b32 v6, a12
	v_accvgpr_read_b32 v7, a13
	;; [unrolled: 1-line block ×4, first 2 shown]
	s_waitcnt lgkmcnt(0)
	v_mul_f64 v[4:5], v[8:9], v[2:3]
	v_fmac_f64_e32 v[4:5], v[6:7], v[0:1]
	v_mul_f64 v[0:1], v[8:9], v[0:1]
	v_fma_f64 v[0:1], v[6:7], v[2:3], -v[0:1]
	v_mul_f64 v[6:7], v[0:1], s[0:1]
	ds_read_b128 v[0:3], v252 offset:9984
	v_mad_u64_u32 v[12:13], s[6:7], s4, v14, v[12:13]
	v_accvgpr_read_b32 v16, a24
	v_mul_f64 v[4:5], v[4:5], s[0:1]
	v_add_u32_e32 v13, s2, v13
	v_accvgpr_read_b32 v18, a26
	v_accvgpr_read_b32 v19, a27
	global_store_dwordx4 v[12:13], v[4:7], off
	ds_read_b128 v[4:7], v252 offset:12480
	v_accvgpr_read_b32 v17, a25
	s_waitcnt lgkmcnt(1)
	v_mul_f64 v[8:9], v[18:19], v[2:3]
	v_fmac_f64_e32 v[8:9], v[16:17], v[0:1]
	v_mul_f64 v[0:1], v[18:19], v[0:1]
	v_fma_f64 v[0:1], v[16:17], v[2:3], -v[0:1]
	v_mad_u64_u32 v[12:13], s[6:7], s4, v14, v[12:13]
	v_mul_f64 v[8:9], v[8:9], s[0:1]
	v_mul_f64 v[10:11], v[0:1], s[0:1]
	v_add_u32_e32 v13, s2, v13
	global_store_dwordx4 v[12:13], v[8:11], off
	v_mad_u64_u32 v[12:13], s[6:7], s4, v14, v[12:13]
	s_nop 0
	v_accvgpr_read_b32 v8, a20
	v_accvgpr_read_b32 v10, a22
	v_accvgpr_read_b32 v11, a23
	v_accvgpr_read_b32 v9, a21
	s_waitcnt lgkmcnt(0)
	v_mul_f64 v[0:1], v[10:11], v[6:7]
	v_mul_f64 v[2:3], v[10:11], v[4:5]
	v_fmac_f64_e32 v[0:1], v[8:9], v[4:5]
	v_fma_f64 v[2:3], v[8:9], v[6:7], -v[2:3]
	ds_read_b128 v[4:7], v252 offset:14976
	v_accvgpr_read_b32 v16, a32
	v_mul_f64 v[0:1], v[0:1], s[0:1]
	v_mul_f64 v[2:3], v[2:3], s[0:1]
	v_add_u32_e32 v13, s2, v13
	v_accvgpr_read_b32 v18, a34
	v_accvgpr_read_b32 v19, a35
	global_store_dwordx4 v[12:13], v[0:3], off
	ds_read_b128 v[0:3], v252 offset:17472
	v_accvgpr_read_b32 v17, a33
	s_waitcnt lgkmcnt(1)
	v_mul_f64 v[8:9], v[18:19], v[6:7]
	v_fmac_f64_e32 v[8:9], v[16:17], v[4:5]
	v_mul_f64 v[4:5], v[18:19], v[4:5]
	v_fma_f64 v[4:5], v[16:17], v[6:7], -v[4:5]
	v_mad_u64_u32 v[12:13], s[6:7], s4, v14, v[12:13]
	v_mul_f64 v[8:9], v[8:9], s[0:1]
	v_mul_f64 v[10:11], v[4:5], s[0:1]
	v_add_u32_e32 v13, s2, v13
	global_store_dwordx4 v[12:13], v[8:11], off
	v_accvgpr_read_b32 v6, a28
	v_accvgpr_read_b32 v7, a29
	;; [unrolled: 1-line block ×4, first 2 shown]
	s_waitcnt lgkmcnt(0)
	v_mul_f64 v[4:5], v[8:9], v[2:3]
	v_fmac_f64_e32 v[4:5], v[6:7], v[0:1]
	v_mul_f64 v[0:1], v[8:9], v[0:1]
	v_fma_f64 v[0:1], v[6:7], v[2:3], -v[0:1]
	v_mul_f64 v[6:7], v[0:1], s[0:1]
	ds_read_b128 v[0:3], v252 offset:19968
	v_mad_u64_u32 v[12:13], s[6:7], s4, v14, v[12:13]
	v_accvgpr_read_b32 v16, a40
	v_mul_f64 v[4:5], v[4:5], s[0:1]
	v_add_u32_e32 v13, s2, v13
	v_accvgpr_read_b32 v18, a42
	v_accvgpr_read_b32 v19, a43
	global_store_dwordx4 v[12:13], v[4:7], off
	ds_read_b128 v[4:7], v252 offset:22464
	v_accvgpr_read_b32 v17, a41
	s_waitcnt lgkmcnt(1)
	v_mul_f64 v[8:9], v[18:19], v[2:3]
	v_fmac_f64_e32 v[8:9], v[16:17], v[0:1]
	v_mul_f64 v[0:1], v[18:19], v[0:1]
	v_fma_f64 v[0:1], v[16:17], v[2:3], -v[0:1]
	v_mad_u64_u32 v[12:13], s[6:7], s4, v14, v[12:13]
	v_mul_f64 v[8:9], v[8:9], s[0:1]
	v_mul_f64 v[10:11], v[0:1], s[0:1]
	v_add_u32_e32 v13, s2, v13
	global_store_dwordx4 v[12:13], v[8:11], off
	v_mad_u64_u32 v[12:13], s[6:7], s4, v14, v[12:13]
	s_nop 0
	v_accvgpr_read_b32 v8, a36
	v_accvgpr_read_b32 v10, a38
	;; [unrolled: 1-line block ×4, first 2 shown]
	s_waitcnt lgkmcnt(0)
	v_mul_f64 v[0:1], v[10:11], v[6:7]
	v_mul_f64 v[2:3], v[10:11], v[4:5]
	v_fmac_f64_e32 v[0:1], v[8:9], v[4:5]
	v_fma_f64 v[2:3], v[8:9], v[6:7], -v[2:3]
	ds_read_b128 v[4:7], v252 offset:24960
	v_accvgpr_read_b32 v16, a52
	v_mul_f64 v[0:1], v[0:1], s[0:1]
	v_mul_f64 v[2:3], v[2:3], s[0:1]
	v_add_u32_e32 v13, s2, v13
	v_accvgpr_read_b32 v18, a54
	v_accvgpr_read_b32 v19, a55
	global_store_dwordx4 v[12:13], v[0:3], off
	ds_read_b128 v[0:3], v252 offset:27456
	v_accvgpr_read_b32 v17, a53
	s_waitcnt lgkmcnt(1)
	v_mul_f64 v[8:9], v[18:19], v[6:7]
	v_fmac_f64_e32 v[8:9], v[16:17], v[4:5]
	v_mul_f64 v[4:5], v[18:19], v[4:5]
	v_fma_f64 v[4:5], v[16:17], v[6:7], -v[4:5]
	v_mad_u64_u32 v[12:13], s[6:7], s4, v14, v[12:13]
	v_mul_f64 v[8:9], v[8:9], s[0:1]
	v_mul_f64 v[10:11], v[4:5], s[0:1]
	v_add_u32_e32 v13, s2, v13
	global_store_dwordx4 v[12:13], v[8:11], off
	v_accvgpr_read_b32 v6, a44
	v_accvgpr_read_b32 v7, a45
	;; [unrolled: 1-line block ×4, first 2 shown]
	s_waitcnt lgkmcnt(0)
	v_mul_f64 v[4:5], v[8:9], v[2:3]
	v_fmac_f64_e32 v[4:5], v[6:7], v[0:1]
	v_mul_f64 v[0:1], v[8:9], v[0:1]
	v_fma_f64 v[0:1], v[6:7], v[2:3], -v[0:1]
	v_mul_f64 v[6:7], v[0:1], s[0:1]
	ds_read_b128 v[0:3], v252 offset:29952
	v_mad_u64_u32 v[8:9], s[6:7], s4, v14, v[12:13]
	v_accvgpr_read_b32 v10, a48
	v_mul_f64 v[4:5], v[4:5], s[0:1]
	v_add_u32_e32 v9, s2, v9
	v_accvgpr_read_b32 v12, a50
	v_accvgpr_read_b32 v13, a51
	global_store_dwordx4 v[8:9], v[4:7], off
	v_accvgpr_read_b32 v11, a49
	s_waitcnt lgkmcnt(0)
	v_mul_f64 v[4:5], v[12:13], v[2:3]
	v_fmac_f64_e32 v[4:5], v[10:11], v[0:1]
	v_mul_f64 v[0:1], v[12:13], v[0:1]
	v_fma_f64 v[0:1], v[10:11], v[2:3], -v[0:1]
	v_mul_f64 v[4:5], v[4:5], s[0:1]
	v_mul_f64 v[6:7], v[0:1], s[0:1]
	v_mad_u64_u32 v[0:1], s[0:1], s4, v14, v[8:9]
	v_add_u32_e32 v1, s2, v1
	global_store_dwordx4 v[0:1], v[4:7], off
.LBB0_18:
	s_endpgm
	.section	.rodata,"a",@progbits
	.p2align	6, 0x0
	.amdhsa_kernel bluestein_single_back_len2028_dim1_dp_op_CI_CI
		.amdhsa_group_segment_fixed_size 32448
		.amdhsa_private_segment_fixed_size 0
		.amdhsa_kernarg_size 104
		.amdhsa_user_sgpr_count 2
		.amdhsa_user_sgpr_dispatch_ptr 0
		.amdhsa_user_sgpr_queue_ptr 0
		.amdhsa_user_sgpr_kernarg_segment_ptr 1
		.amdhsa_user_sgpr_dispatch_id 0
		.amdhsa_user_sgpr_kernarg_preload_length 0
		.amdhsa_user_sgpr_kernarg_preload_offset 0
		.amdhsa_user_sgpr_private_segment_size 0
		.amdhsa_uses_dynamic_stack 0
		.amdhsa_enable_private_segment 0
		.amdhsa_system_sgpr_workgroup_id_x 1
		.amdhsa_system_sgpr_workgroup_id_y 0
		.amdhsa_system_sgpr_workgroup_id_z 0
		.amdhsa_system_sgpr_workgroup_info 0
		.amdhsa_system_vgpr_workitem_id 0
		.amdhsa_next_free_vgpr 320
		.amdhsa_next_free_sgpr 48
		.amdhsa_accum_offset 256
		.amdhsa_reserve_vcc 1
		.amdhsa_float_round_mode_32 0
		.amdhsa_float_round_mode_16_64 0
		.amdhsa_float_denorm_mode_32 3
		.amdhsa_float_denorm_mode_16_64 3
		.amdhsa_dx10_clamp 1
		.amdhsa_ieee_mode 1
		.amdhsa_fp16_overflow 0
		.amdhsa_tg_split 0
		.amdhsa_exception_fp_ieee_invalid_op 0
		.amdhsa_exception_fp_denorm_src 0
		.amdhsa_exception_fp_ieee_div_zero 0
		.amdhsa_exception_fp_ieee_overflow 0
		.amdhsa_exception_fp_ieee_underflow 0
		.amdhsa_exception_fp_ieee_inexact 0
		.amdhsa_exception_int_div_zero 0
	.end_amdhsa_kernel
	.text
.Lfunc_end0:
	.size	bluestein_single_back_len2028_dim1_dp_op_CI_CI, .Lfunc_end0-bluestein_single_back_len2028_dim1_dp_op_CI_CI
                                        ; -- End function
	.section	.AMDGPU.csdata,"",@progbits
; Kernel info:
; codeLenInByte = 24576
; NumSgprs: 54
; NumVgprs: 256
; NumAgprs: 64
; TotalNumVgprs: 320
; ScratchSize: 0
; MemoryBound: 0
; FloatMode: 240
; IeeeMode: 1
; LDSByteSize: 32448 bytes/workgroup (compile time only)
; SGPRBlocks: 6
; VGPRBlocks: 39
; NumSGPRsForWavesPerEU: 54
; NumVGPRsForWavesPerEU: 320
; AccumOffset: 256
; Occupancy: 1
; WaveLimiterHint : 1
; COMPUTE_PGM_RSRC2:SCRATCH_EN: 0
; COMPUTE_PGM_RSRC2:USER_SGPR: 2
; COMPUTE_PGM_RSRC2:TRAP_HANDLER: 0
; COMPUTE_PGM_RSRC2:TGID_X_EN: 1
; COMPUTE_PGM_RSRC2:TGID_Y_EN: 0
; COMPUTE_PGM_RSRC2:TGID_Z_EN: 0
; COMPUTE_PGM_RSRC2:TIDIG_COMP_CNT: 0
; COMPUTE_PGM_RSRC3_GFX90A:ACCUM_OFFSET: 63
; COMPUTE_PGM_RSRC3_GFX90A:TG_SPLIT: 0
	.text
	.p2alignl 6, 3212836864
	.fill 256, 4, 3212836864
	.type	__hip_cuid_b4f2d07a0788c4df,@object ; @__hip_cuid_b4f2d07a0788c4df
	.section	.bss,"aw",@nobits
	.globl	__hip_cuid_b4f2d07a0788c4df
__hip_cuid_b4f2d07a0788c4df:
	.byte	0                               ; 0x0
	.size	__hip_cuid_b4f2d07a0788c4df, 1

	.ident	"AMD clang version 19.0.0git (https://github.com/RadeonOpenCompute/llvm-project roc-6.4.0 25133 c7fe45cf4b819c5991fe208aaa96edf142730f1d)"
	.section	".note.GNU-stack","",@progbits
	.addrsig
	.addrsig_sym __hip_cuid_b4f2d07a0788c4df
	.amdgpu_metadata
---
amdhsa.kernels:
  - .agpr_count:     64
    .args:
      - .actual_access:  read_only
        .address_space:  global
        .offset:         0
        .size:           8
        .value_kind:     global_buffer
      - .actual_access:  read_only
        .address_space:  global
        .offset:         8
        .size:           8
        .value_kind:     global_buffer
      - .actual_access:  read_only
        .address_space:  global
        .offset:         16
        .size:           8
        .value_kind:     global_buffer
      - .actual_access:  read_only
        .address_space:  global
        .offset:         24
        .size:           8
        .value_kind:     global_buffer
      - .actual_access:  read_only
        .address_space:  global
        .offset:         32
        .size:           8
        .value_kind:     global_buffer
      - .offset:         40
        .size:           8
        .value_kind:     by_value
      - .address_space:  global
        .offset:         48
        .size:           8
        .value_kind:     global_buffer
      - .address_space:  global
        .offset:         56
        .size:           8
        .value_kind:     global_buffer
      - .address_space:  global
        .offset:         64
        .size:           8
        .value_kind:     global_buffer
      - .address_space:  global
        .offset:         72
        .size:           8
        .value_kind:     global_buffer
      - .offset:         80
        .size:           4
        .value_kind:     by_value
      - .address_space:  global
        .offset:         88
        .size:           8
        .value_kind:     global_buffer
      - .address_space:  global
        .offset:         96
        .size:           8
        .value_kind:     global_buffer
    .group_segment_fixed_size: 32448
    .kernarg_segment_align: 8
    .kernarg_segment_size: 104
    .language:       OpenCL C
    .language_version:
      - 2
      - 0
    .max_flat_workgroup_size: 156
    .name:           bluestein_single_back_len2028_dim1_dp_op_CI_CI
    .private_segment_fixed_size: 0
    .sgpr_count:     54
    .sgpr_spill_count: 0
    .symbol:         bluestein_single_back_len2028_dim1_dp_op_CI_CI.kd
    .uniform_work_group_size: 1
    .uses_dynamic_stack: false
    .vgpr_count:     320
    .vgpr_spill_count: 0
    .wavefront_size: 64
amdhsa.target:   amdgcn-amd-amdhsa--gfx950
amdhsa.version:
  - 1
  - 2
...

	.end_amdgpu_metadata
